;; amdgpu-corpus repo=ROCm/rocFFT kind=compiled arch=gfx1030 opt=O3
	.text
	.amdgcn_target "amdgcn-amd-amdhsa--gfx1030"
	.amdhsa_code_object_version 6
	.protected	bluestein_single_back_len676_dim1_dp_op_CI_CI ; -- Begin function bluestein_single_back_len676_dim1_dp_op_CI_CI
	.globl	bluestein_single_back_len676_dim1_dp_op_CI_CI
	.p2align	8
	.type	bluestein_single_back_len676_dim1_dp_op_CI_CI,@function
bluestein_single_back_len676_dim1_dp_op_CI_CI: ; @bluestein_single_back_len676_dim1_dp_op_CI_CI
; %bb.0:
	s_load_dwordx4 s[16:19], s[4:5], 0x28
	v_mul_u32_u24_e32 v1, 0x4ed, v0
	s_mov_b64 s[50:51], s[2:3]
	s_mov_b64 s[48:49], s[0:1]
	v_mov_b32_e32 v5, 0
	s_add_u32 s48, s48, s7
	v_lshrrev_b32_e32 v1, 16, v1
	s_addc_u32 s49, s49, 0
	s_mov_b32 s0, exec_lo
	v_add_nc_u32_e32 v4, s6, v1
	s_waitcnt lgkmcnt(0)
	v_cmpx_gt_u64_e64 s[16:17], v[4:5]
	s_cbranch_execz .LBB0_10
; %bb.1:
	s_clause 0x1
	s_load_dwordx4 s[8:11], s[4:5], 0x18
	s_load_dwordx4 s[0:3], s[4:5], 0x0
	v_mul_lo_u16 v1, v1, 52
	v_mov_b32_e32 v5, v4
	s_mov_b32 s26, 0x66966769
	s_mov_b32 s27, 0xbfefc445
	;; [unrolled: 1-line block ×3, first 2 shown]
	v_sub_nc_u16 v10, v0, v1
	s_mov_b32 s24, 0x42a4c3d2
	s_mov_b32 s20, 0x24c2f84
	;; [unrolled: 1-line block ×4, first 2 shown]
	v_and_b32_e32 v21, 0xffff, v10
	s_mov_b32 s25, 0xbfea55e2
	s_mov_b32 s21, 0xbfe5384d
	;; [unrolled: 1-line block ×4, first 2 shown]
	v_lshlrev_b32_e32 v255, 4, v21
	s_mov_b32 s22, 0x93053d00
	s_mov_b32 s17, 0xbfe7f3cc
	s_waitcnt lgkmcnt(0)
	s_load_dwordx4 s[12:15], s[8:9], 0x0
	buffer_store_dword v5, off, s[48:51], 0 offset:16 ; 4-byte Folded Spill
	buffer_store_dword v6, off, s[48:51], 0 offset:20 ; 4-byte Folded Spill
	s_mov_b32 s23, 0xbfef11f4
	s_mov_b32 s37, 0x3fe5384d
	;; [unrolled: 1-line block ×12, first 2 shown]
	s_load_dwordx2 s[4:5], s[4:5], 0x38
	s_waitcnt lgkmcnt(0)
	v_mad_u64_u32 v[0:1], null, s14, v4, 0
	v_mad_u64_u32 v[2:3], null, s12, v21, 0
	s_mul_i32 s6, s13, 0x340
	s_mul_hi_u32 s8, s12, 0x340
	s_mul_i32 s7, s12, 0x340
	s_add_i32 s6, s8, s6
	v_mad_u64_u32 v[4:5], null, s15, v4, v[1:2]
	s_mov_b32 s14, 0xe00740e9
	s_mov_b32 s15, 0x3fec55a7
	v_mad_u64_u32 v[5:6], null, s13, v21, v[3:4]
	v_mov_b32_e32 v1, v4
	s_mov_b32 s12, 0x1ea71119
	s_mov_b32 s13, 0x3fe22d96
	v_lshlrev_b64 v[0:1], 4, v[0:1]
	v_mov_b32_e32 v3, v5
	v_add_co_u32 v0, vcc_lo, s18, v0
	v_lshlrev_b64 v[2:3], 4, v[2:3]
	v_add_co_ci_u32_e32 v1, vcc_lo, s19, v1, vcc_lo
	s_mov_b32 s18, 0x2ef20147
	s_mov_b32 s19, 0xbfedeba7
	;; [unrolled: 1-line block ×3, first 2 shown]
	v_add_co_u32 v4, vcc_lo, v0, v2
	v_add_co_ci_u32_e32 v5, vcc_lo, v1, v3, vcc_lo
	global_load_dwordx4 v[22:25], v255, s[0:1]
	global_load_dwordx4 v[0:3], v[4:5], off
	v_add_co_u32 v8, vcc_lo, v4, s7
	v_add_co_ci_u32_e32 v9, vcc_lo, s6, v5, vcc_lo
	global_load_dwordx4 v[50:53], v255, s[0:1] offset:832
	global_load_dwordx4 v[4:7], v[8:9], off
	v_add_co_u32 v11, vcc_lo, v8, s7
	v_add_co_ci_u32_e32 v12, vcc_lo, s6, v9, vcc_lo
	global_load_dwordx4 v[54:57], v255, s[0:1] offset:1664
	global_load_dwordx4 v[28:31], v[11:12], off
	v_add_co_u32 v8, s0, s0, v255
	v_add_co_ci_u32_e64 v9, null, s1, 0, s0
	s_mov_b32 s0, 0xebaa3ed8
	v_add_co_u32 v13, vcc_lo, 0x800, v8
	v_add_co_ci_u32_e32 v14, vcc_lo, 0, v9, vcc_lo
	v_add_co_u32 v11, vcc_lo, v11, s7
	v_add_co_ci_u32_e32 v12, vcc_lo, s6, v12, vcc_lo
	global_load_dwordx4 v[58:61], v[13:14], off offset:448
	global_load_dwordx4 v[32:35], v[11:12], off
	v_add_co_u32 v11, vcc_lo, v11, s7
	v_add_co_ci_u32_e32 v12, vcc_lo, s6, v12, vcc_lo
	global_load_dwordx4 v[62:65], v[13:14], off offset:1280
	global_load_dwordx4 v[36:39], v[11:12], off
	v_add_co_u32 v13, vcc_lo, 0x1000, v8
	v_add_co_ci_u32_e32 v14, vcc_lo, 0, v9, vcc_lo
	v_add_co_u32 v11, vcc_lo, v11, s7
	v_add_co_ci_u32_e32 v12, vcc_lo, s6, v12, vcc_lo
	global_load_dwordx4 v[66:69], v[13:14], off offset:64
	global_load_dwordx4 v[40:43], v[11:12], off
	v_add_co_u32 v11, vcc_lo, v11, s7
	v_add_co_ci_u32_e32 v12, vcc_lo, s6, v12, vcc_lo
	global_load_dwordx4 v[70:73], v[13:14], off offset:896
	global_load_dwordx4 v[44:47], v[11:12], off
	v_add_co_u32 v11, vcc_lo, v11, s7
	v_add_co_ci_u32_e32 v12, vcc_lo, s6, v12, vcc_lo
	s_mov_b32 s1, 0x3fbedb7d
	s_waitcnt vmcnt(12)
	v_mul_f64 v[15:16], v[2:3], v[24:25]
	v_mul_f64 v[17:18], v[0:1], v[24:25]
	s_waitcnt vmcnt(10)
	v_mul_f64 v[48:49], v[6:7], v[52:53]
	v_fma_f64 v[0:1], v[0:1], v[22:23], v[15:16]
	buffer_store_dword v22, off, s[48:51], 0 offset:28 ; 4-byte Folded Spill
	buffer_store_dword v23, off, s[48:51], 0 offset:32 ; 4-byte Folded Spill
	;; [unrolled: 1-line block ×4, first 2 shown]
	v_mul_f64 v[15:16], v[4:5], v[52:53]
	v_fma_f64 v[4:5], v[4:5], v[50:51], v[48:49]
	buffer_store_dword v50, off, s[48:51], 0 offset:44 ; 4-byte Folded Spill
	buffer_store_dword v51, off, s[48:51], 0 offset:48 ; 4-byte Folded Spill
	;; [unrolled: 1-line block ×4, first 2 shown]
	s_waitcnt vmcnt(6)
	v_mul_f64 v[48:49], v[34:35], v[60:61]
	v_fma_f64 v[2:3], v[2:3], v[22:23], -v[17:18]
	v_mul_f64 v[17:18], v[30:31], v[56:57]
	v_fma_f64 v[6:7], v[6:7], v[50:51], -v[15:16]
	v_mul_f64 v[15:16], v[28:29], v[56:57]
	v_fma_f64 v[52:53], v[28:29], v[54:55], v[17:18]
	buffer_store_dword v54, off, s[48:51], 0 offset:76 ; 4-byte Folded Spill
	buffer_store_dword v55, off, s[48:51], 0 offset:80 ; 4-byte Folded Spill
	;; [unrolled: 1-line block ×4, first 2 shown]
	v_fma_f64 v[56:57], v[32:33], v[58:59], v[48:49]
	s_waitcnt vmcnt(4)
	v_mul_f64 v[17:18], v[38:39], v[64:65]
	s_waitcnt vmcnt(2)
	v_mul_f64 v[28:29], v[42:43], v[68:69]
	v_fma_f64 v[54:55], v[30:31], v[54:55], -v[15:16]
	v_mul_f64 v[15:16], v[32:33], v[60:61]
	buffer_store_dword v58, off, s[48:51], 0 offset:60 ; 4-byte Folded Spill
	buffer_store_dword v59, off, s[48:51], 0 offset:64 ; 4-byte Folded Spill
	;; [unrolled: 1-line block ×4, first 2 shown]
	v_fma_f64 v[60:61], v[36:37], v[62:63], v[17:18]
	s_waitcnt vmcnt(0)
	v_mul_f64 v[17:18], v[46:47], v[72:73]
	v_fma_f64 v[58:59], v[34:35], v[58:59], -v[15:16]
	v_mul_f64 v[15:16], v[36:37], v[64:65]
	buffer_store_dword v62, off, s[48:51], 0 offset:92 ; 4-byte Folded Spill
	buffer_store_dword v63, off, s[48:51], 0 offset:96 ; 4-byte Folded Spill
	;; [unrolled: 1-line block ×4, first 2 shown]
	v_fma_f64 v[64:65], v[40:41], v[66:67], v[28:29]
	v_fma_f64 v[62:63], v[38:39], v[62:63], -v[15:16]
	v_mul_f64 v[15:16], v[40:41], v[68:69]
	buffer_store_dword v66, off, s[48:51], 0 offset:108 ; 4-byte Folded Spill
	buffer_store_dword v67, off, s[48:51], 0 offset:112 ; 4-byte Folded Spill
	;; [unrolled: 1-line block ×4, first 2 shown]
	global_load_dwordx4 v[22:25], v[13:14], off offset:1728
	v_fma_f64 v[68:69], v[44:45], v[70:71], v[17:18]
	v_fma_f64 v[66:67], v[42:43], v[66:67], -v[15:16]
	v_mul_f64 v[15:16], v[44:45], v[72:73]
	buffer_store_dword v70, off, s[48:51], 0 offset:124 ; 4-byte Folded Spill
	buffer_store_dword v71, off, s[48:51], 0 offset:128 ; 4-byte Folded Spill
	;; [unrolled: 1-line block ×4, first 2 shown]
	global_load_dwordx4 v[32:35], v[11:12], off
	v_add_co_u32 v11, vcc_lo, v11, s7
	v_add_co_ci_u32_e32 v12, vcc_lo, s6, v12, vcc_lo
	v_fma_f64 v[70:71], v[46:47], v[70:71], -v[15:16]
	s_waitcnt vmcnt(0)
	v_mul_f64 v[13:14], v[34:35], v[24:25]
	v_mul_f64 v[15:16], v[32:33], v[24:25]
	v_fma_f64 v[72:73], v[32:33], v[22:23], v[13:14]
	buffer_store_dword v22, off, s[48:51], 0 offset:140 ; 4-byte Folded Spill
	buffer_store_dword v23, off, s[48:51], 0 offset:144 ; 4-byte Folded Spill
	;; [unrolled: 1-line block ×4, first 2 shown]
	v_add_co_u32 v13, vcc_lo, 0x1800, v8
	v_add_co_ci_u32_e32 v14, vcc_lo, 0, v9, vcc_lo
	v_fma_f64 v[74:75], v[34:35], v[22:23], -v[15:16]
	s_clause 0x1
	global_load_dwordx4 v[17:20], v[13:14], off offset:512
	global_load_dwordx4 v[22:25], v[13:14], off offset:1344
	global_load_dwordx4 v[40:43], v[11:12], off
	v_add_co_u32 v11, vcc_lo, v11, s7
	v_add_co_ci_u32_e32 v12, vcc_lo, s6, v12, vcc_lo
	s_waitcnt vmcnt(0)
	v_mul_f64 v[13:14], v[42:43], v[19:20]
	v_mul_f64 v[15:16], v[40:41], v[19:20]
	v_fma_f64 v[76:77], v[40:41], v[17:18], v[13:14]
	buffer_store_dword v17, off, s[48:51], 0 offset:156 ; 4-byte Folded Spill
	buffer_store_dword v18, off, s[48:51], 0 offset:160 ; 4-byte Folded Spill
	;; [unrolled: 1-line block ×4, first 2 shown]
	v_fma_f64 v[78:79], v[42:43], v[17:18], -v[15:16]
	global_load_dwordx4 v[40:43], v[11:12], off
	v_add_co_u32 v11, vcc_lo, v11, s7
	v_add_co_ci_u32_e32 v12, vcc_lo, s6, v12, vcc_lo
	s_waitcnt vmcnt(0)
	v_mul_f64 v[13:14], v[42:43], v[24:25]
	v_mul_f64 v[15:16], v[40:41], v[24:25]
	v_fma_f64 v[80:81], v[40:41], v[22:23], v[13:14]
	buffer_store_dword v22, off, s[48:51], 0 offset:172 ; 4-byte Folded Spill
	buffer_store_dword v23, off, s[48:51], 0 offset:176 ; 4-byte Folded Spill
	;; [unrolled: 1-line block ×4, first 2 shown]
	v_add_co_u32 v13, vcc_lo, 0x2000, v8
	v_add_co_ci_u32_e32 v14, vcc_lo, 0, v9, vcc_lo
	v_fma_f64 v[82:83], v[42:43], v[22:23], -v[15:16]
	global_load_dwordx4 v[48:51], v[11:12], off
	s_clause 0x1
	global_load_dwordx4 v[22:25], v[13:14], off offset:128
	global_load_dwordx4 v[26:29], v[13:14], off offset:960
	v_add_co_u32 v11, vcc_lo, v11, s7
	v_add_co_ci_u32_e32 v12, vcc_lo, s6, v12, vcc_lo
	s_waitcnt vmcnt(1)
	v_mul_f64 v[15:16], v[50:51], v[24:25]
	v_mul_f64 v[17:18], v[48:49], v[24:25]
	v_fma_f64 v[84:85], v[48:49], v[22:23], v[15:16]
	buffer_store_dword v22, off, s[48:51], 0 offset:188 ; 4-byte Folded Spill
	buffer_store_dword v23, off, s[48:51], 0 offset:192 ; 4-byte Folded Spill
	;; [unrolled: 1-line block ×4, first 2 shown]
	v_fma_f64 v[86:87], v[50:51], v[22:23], -v[17:18]
	global_load_dwordx4 v[48:51], v[11:12], off
	v_add_co_u32 v11, vcc_lo, v11, s7
	v_add_co_ci_u32_e32 v12, vcc_lo, s6, v12, vcc_lo
	s_mov_b32 s6, 0xb2365da1
	s_mov_b32 s7, 0xbfd6b1d8
	v_cmp_gt_u16_e32 vcc_lo, 13, v10
	s_waitcnt vmcnt(0)
	v_mul_f64 v[15:16], v[50:51], v[28:29]
	v_mul_f64 v[17:18], v[48:49], v[28:29]
	v_fma_f64 v[88:89], v[48:49], v[26:27], v[15:16]
	buffer_store_dword v26, off, s[48:51], 0 offset:204 ; 4-byte Folded Spill
	buffer_store_dword v27, off, s[48:51], 0 offset:208 ; 4-byte Folded Spill
	;; [unrolled: 1-line block ×4, first 2 shown]
	v_fma_f64 v[90:91], v[50:51], v[26:27], -v[17:18]
	global_load_dwordx4 v[15:18], v[13:14], off offset:1792
	global_load_dwordx4 v[92:95], v[11:12], off
	s_waitcnt vmcnt(0)
	v_mul_f64 v[11:12], v[94:95], v[17:18]
	v_mul_f64 v[13:14], v[92:93], v[17:18]
	v_fma_f64 v[92:93], v[92:93], v[15:16], v[11:12]
	buffer_store_dword v15, off, s[48:51], 0 offset:220 ; 4-byte Folded Spill
	buffer_store_dword v16, off, s[48:51], 0 offset:224 ; 4-byte Folded Spill
	;; [unrolled: 1-line block ×4, first 2 shown]
	ds_write_b128 v255, v[0:3]
	ds_write_b128 v255, v[4:7] offset:832
	ds_write_b128 v255, v[52:55] offset:1664
	;; [unrolled: 1-line block ×8, first 2 shown]
	s_load_dwordx4 s[8:11], s[10:11], 0x0
	v_fma_f64 v[94:95], v[94:95], v[15:16], -v[13:14]
	ds_write_b128 v255, v[80:83] offset:7488
	ds_write_b128 v255, v[84:87] offset:8320
	;; [unrolled: 1-line block ×4, first 2 shown]
	s_waitcnt lgkmcnt(0)
	s_waitcnt_vscnt null, 0x0
	s_barrier
	buffer_gl0_inv
	ds_read_b128 v[56:59], v255
	ds_read_b128 v[52:55], v255 offset:832
	ds_read_b128 v[60:63], v255 offset:1664
	;; [unrolled: 1-line block ×7, first 2 shown]
	s_waitcnt lgkmcnt(6)
	v_add_f64 v[0:1], v[56:57], v[52:53]
	v_add_f64 v[2:3], v[58:59], v[54:55]
	s_waitcnt lgkmcnt(0)
	v_add_f64 v[84:85], v[80:81], v[76:77]
	v_add_f64 v[86:87], v[82:83], v[78:79]
	v_add_f64 v[92:93], v[80:81], -v[76:77]
	v_add_f64 v[94:95], v[82:83], -v[78:79]
	v_add_f64 v[0:1], v[0:1], v[60:61]
	v_add_f64 v[2:3], v[2:3], v[62:63]
	v_mul_f64 v[168:169], v[94:95], s[20:21]
	v_add_f64 v[0:1], v[0:1], v[64:65]
	v_add_f64 v[2:3], v[2:3], v[66:67]
	;; [unrolled: 1-line block ×8, first 2 shown]
	ds_read_b128 v[0:3], v255 offset:6656
	ds_read_b128 v[4:7], v255 offset:7488
	s_waitcnt lgkmcnt(1)
	v_add_f64 v[96:97], v[72:73], -v[0:1]
	v_add_f64 v[11:12], v[88:89], v[76:77]
	v_add_f64 v[13:14], v[90:91], v[78:79]
	;; [unrolled: 1-line block ×4, first 2 shown]
	v_add_f64 v[98:99], v[74:75], -v[2:3]
	s_waitcnt lgkmcnt(0)
	v_add_f64 v[72:73], v[68:69], v[4:5]
	v_add_f64 v[74:75], v[70:71], v[6:7]
	v_add_f64 v[100:101], v[68:69], -v[4:5]
	v_add_f64 v[102:103], v[70:71], -v[6:7]
	v_mul_f64 v[142:143], v[96:97], s[28:29]
	v_add_f64 v[0:1], v[11:12], v[0:1]
	v_add_f64 v[2:3], v[13:14], v[2:3]
	v_mul_f64 v[166:167], v[96:97], s[24:25]
	v_mul_f64 v[164:165], v[98:99], s[24:25]
	;; [unrolled: 1-line block ×4, first 2 shown]
	v_add_f64 v[11:12], v[0:1], v[4:5]
	v_add_f64 v[13:14], v[2:3], v[6:7]
	ds_read_b128 v[0:3], v255 offset:8320
	ds_read_b128 v[4:7], v255 offset:9152
	s_waitcnt lgkmcnt(1)
	v_add_f64 v[68:69], v[64:65], v[0:1]
	v_add_f64 v[70:71], v[66:67], v[2:3]
	v_add_f64 v[104:105], v[64:65], -v[0:1]
	v_add_f64 v[106:107], v[66:67], -v[2:3]
	v_add_f64 v[0:1], v[11:12], v[0:1]
	v_add_f64 v[2:3], v[13:14], v[2:3]
	s_waitcnt lgkmcnt(0)
	v_add_f64 v[80:81], v[60:61], v[4:5]
	v_add_f64 v[82:83], v[62:63], v[6:7]
	v_add_f64 v[112:113], v[60:61], -v[4:5]
	v_add_f64 v[114:115], v[62:63], -v[6:7]
	v_mul_f64 v[158:159], v[104:105], s[42:43]
	v_mul_f64 v[156:157], v[106:107], s[42:43]
	v_add_f64 v[4:5], v[0:1], v[4:5]
	v_add_f64 v[6:7], v[2:3], v[6:7]
	ds_read_b128 v[0:3], v255 offset:9984
	s_waitcnt lgkmcnt(0)
	s_barrier
	buffer_gl0_inv
	v_add_f64 v[11:12], v[54:55], -v[2:3]
	v_add_f64 v[13:14], v[52:53], v[0:1]
	v_add_f64 v[17:18], v[52:53], -v[0:1]
	v_add_f64 v[52:53], v[4:5], v[0:1]
	v_add_f64 v[15:16], v[54:55], v[2:3]
	;; [unrolled: 1-line block ×3, first 2 shown]
	v_mul_f64 v[4:5], v[11:12], s[26:27]
	v_mul_f64 v[0:1], v[11:12], s[44:45]
	v_mul_f64 v[2:3], v[11:12], s[24:25]
	v_mul_f64 v[6:7], v[11:12], s[18:19]
	v_mul_f64 v[60:61], v[11:12], s[20:21]
	v_mul_f64 v[11:12], v[11:12], s[34:35]
	v_mul_f64 v[88:89], v[17:18], s[24:25]
	v_mul_f64 v[90:91], v[17:18], s[26:27]
	v_mul_f64 v[118:119], v[17:18], s[18:19]
	v_mul_f64 v[120:121], v[17:18], s[20:21]
	v_fma_f64 v[66:67], v[13:14], s[0:1], -v[4:5]
	v_fma_f64 v[4:5], v[13:14], s[0:1], v[4:5]
	v_fma_f64 v[62:63], v[13:14], s[14:15], -v[0:1]
	v_fma_f64 v[0:1], v[13:14], s[14:15], v[0:1]
	v_fma_f64 v[64:65], v[13:14], s[12:13], -v[2:3]
	v_fma_f64 v[2:3], v[13:14], s[12:13], v[2:3]
	v_fma_f64 v[108:109], v[13:14], s[6:7], -v[6:7]
	v_fma_f64 v[6:7], v[13:14], s[6:7], v[6:7]
	v_fma_f64 v[110:111], v[13:14], s[16:17], -v[60:61]
	v_fma_f64 v[60:61], v[13:14], s[16:17], v[60:61]
	v_fma_f64 v[116:117], v[13:14], s[22:23], -v[11:12]
	v_fma_f64 v[11:12], v[13:14], s[22:23], v[11:12]
	v_mul_f64 v[13:14], v[17:18], s[44:45]
	v_mul_f64 v[17:18], v[17:18], s[34:35]
	v_fma_f64 v[124:125], v[15:16], s[12:13], v[88:89]
	v_fma_f64 v[126:127], v[15:16], s[12:13], -v[88:89]
	v_fma_f64 v[128:129], v[15:16], s[0:1], v[90:91]
	v_fma_f64 v[130:131], v[15:16], s[0:1], -v[90:91]
	;; [unrolled: 2-line block ×4, first 2 shown]
	v_add_f64 v[152:153], v[56:57], v[66:67]
	v_add_f64 v[150:151], v[56:57], v[4:5]
	v_mul_f64 v[4:5], v[114:115], s[24:25]
	v_add_f64 v[138:139], v[56:57], v[0:1]
	v_add_f64 v[64:65], v[56:57], v[64:65]
	;; [unrolled: 1-line block ×5, first 2 shown]
	v_mul_f64 v[66:67], v[100:101], s[18:19]
	v_fma_f64 v[122:123], v[15:16], s[14:15], v[13:14]
	v_fma_f64 v[13:14], v[15:16], s[14:15], -v[13:14]
	v_fma_f64 v[136:137], v[15:16], s[22:23], v[17:18]
	v_fma_f64 v[15:16], v[15:16], s[22:23], -v[17:18]
	v_add_f64 v[17:18], v[56:57], v[62:63]
	v_add_f64 v[90:91], v[58:59], v[126:127]
	;; [unrolled: 1-line block ×6, first 2 shown]
	v_mul_f64 v[11:12], v[112:113], s[24:25]
	v_add_f64 v[140:141], v[58:59], v[124:125]
	v_fma_f64 v[6:7], v[80:81], s[12:13], -v[4:5]
	v_add_f64 v[154:155], v[58:59], v[128:129]
	v_add_f64 v[148:149], v[58:59], v[130:131]
	;; [unrolled: 1-line block ×5, first 2 shown]
	v_fma_f64 v[4:5], v[80:81], s[12:13], v[4:5]
	v_mul_f64 v[128:129], v[98:99], s[20:21]
	v_mul_f64 v[130:131], v[96:97], s[20:21]
	;; [unrolled: 1-line block ×3, first 2 shown]
	v_add_f64 v[62:63], v[58:59], v[122:123]
	v_add_f64 v[122:123], v[56:57], v[60:61]
	v_add_f64 v[13:14], v[58:59], v[13:14]
	v_add_f64 v[108:109], v[58:59], v[15:16]
	v_add_f64 v[116:117], v[58:59], v[136:137]
	v_mul_f64 v[134:135], v[104:105], s[34:35]
	v_mul_f64 v[136:137], v[102:103], s[36:37]
	v_fma_f64 v[15:16], v[82:83], s[12:13], v[11:12]
	v_fma_f64 v[11:12], v[82:83], s[12:13], -v[11:12]
	v_add_f64 v[6:7], v[6:7], v[17:18]
	v_mul_f64 v[17:18], v[106:107], s[26:27]
	v_add_f64 v[4:5], v[4:5], v[138:139]
	v_mul_f64 v[138:139], v[100:101], s[36:37]
	v_add_f64 v[15:16], v[15:16], v[62:63]
	v_add_f64 v[11:12], v[11:12], v[13:14]
	v_fma_f64 v[56:57], v[68:69], s[0:1], -v[17:18]
	v_fma_f64 v[13:14], v[68:69], s[0:1], v[17:18]
	v_add_f64 v[6:7], v[56:57], v[6:7]
	v_mul_f64 v[56:57], v[104:105], s[26:27]
	v_add_f64 v[4:5], v[13:14], v[4:5]
	v_fma_f64 v[58:59], v[70:71], s[0:1], v[56:57]
	v_fma_f64 v[13:14], v[70:71], s[0:1], -v[56:57]
	v_add_f64 v[15:16], v[58:59], v[15:16]
	v_mul_f64 v[58:59], v[102:103], s[18:19]
	v_add_f64 v[11:12], v[13:14], v[11:12]
	v_fma_f64 v[60:61], v[72:73], s[6:7], -v[58:59]
	v_fma_f64 v[13:14], v[72:73], s[6:7], v[58:59]
	v_add_f64 v[6:7], v[60:61], v[6:7]
	v_fma_f64 v[60:61], v[74:75], s[6:7], v[66:67]
	v_add_f64 v[4:5], v[13:14], v[4:5]
	v_fma_f64 v[13:14], v[74:75], s[6:7], -v[66:67]
	v_add_f64 v[15:16], v[60:61], v[15:16]
	v_fma_f64 v[60:61], v[76:77], s[16:17], -v[128:129]
	v_add_f64 v[11:12], v[13:14], v[11:12]
	v_fma_f64 v[13:14], v[76:77], s[16:17], v[128:129]
	v_mul_f64 v[128:129], v[114:115], s[18:19]
	v_add_f64 v[6:7], v[60:61], v[6:7]
	v_fma_f64 v[60:61], v[78:79], s[16:17], v[130:131]
	v_add_f64 v[4:5], v[13:14], v[4:5]
	v_fma_f64 v[13:14], v[78:79], s[16:17], -v[130:131]
	v_mul_f64 v[130:131], v[112:113], s[18:19]
	v_add_f64 v[15:16], v[60:61], v[15:16]
	v_fma_f64 v[60:61], v[84:85], s[22:23], -v[132:133]
	v_add_f64 v[11:12], v[13:14], v[11:12]
	v_fma_f64 v[13:14], v[84:85], s[22:23], v[132:133]
	v_mul_f64 v[132:133], v[106:107], s[34:35]
	v_add_f64 v[60:61], v[60:61], v[6:7]
	v_mul_f64 v[6:7], v[92:93], s[34:35]
	v_add_f64 v[56:57], v[13:14], v[4:5]
	v_fma_f64 v[4:5], v[80:81], s[6:7], -v[128:129]
	v_fma_f64 v[62:63], v[86:87], s[22:23], v[6:7]
	v_fma_f64 v[6:7], v[86:87], s[22:23], -v[6:7]
	v_add_f64 v[4:5], v[4:5], v[64:65]
	v_add_f64 v[62:63], v[62:63], v[15:16]
	;; [unrolled: 1-line block ×3, first 2 shown]
	v_fma_f64 v[6:7], v[82:83], s[6:7], v[130:131]
	v_fma_f64 v[11:12], v[68:69], s[22:23], -v[132:133]
	v_mul_f64 v[15:16], v[112:113], s[34:35]
	v_add_f64 v[6:7], v[6:7], v[140:141]
	v_add_f64 v[4:5], v[11:12], v[4:5]
	v_fma_f64 v[11:12], v[70:71], s[22:23], v[134:135]
	v_mul_f64 v[140:141], v[98:99], s[28:29]
	v_fma_f64 v[17:18], v[82:83], s[22:23], v[15:16]
	v_fma_f64 v[15:16], v[82:83], s[22:23], -v[15:16]
	v_add_f64 v[6:7], v[11:12], v[6:7]
	v_fma_f64 v[11:12], v[72:73], s[16:17], -v[136:137]
	v_add_f64 v[17:18], v[17:18], v[154:155]
	v_add_f64 v[15:16], v[15:16], v[148:149]
	;; [unrolled: 1-line block ×3, first 2 shown]
	v_fma_f64 v[11:12], v[74:75], s[16:17], v[138:139]
	v_add_f64 v[6:7], v[11:12], v[6:7]
	v_fma_f64 v[11:12], v[76:77], s[0:1], -v[140:141]
	v_add_f64 v[11:12], v[11:12], v[4:5]
	v_fma_f64 v[4:5], v[78:79], s[0:1], v[142:143]
	v_add_f64 v[13:14], v[4:5], v[6:7]
	v_mul_f64 v[4:5], v[94:95], s[30:31]
	v_fma_f64 v[6:7], v[84:85], s[14:15], -v[4:5]
	v_fma_f64 v[4:5], v[84:85], s[14:15], v[4:5]
	v_add_f64 v[64:65], v[6:7], v[11:12]
	v_mul_f64 v[6:7], v[92:93], s[30:31]
	v_fma_f64 v[11:12], v[86:87], s[14:15], v[6:7]
	v_fma_f64 v[6:7], v[86:87], s[14:15], -v[6:7]
	v_add_f64 v[66:67], v[11:12], v[13:14]
	v_mul_f64 v[11:12], v[114:115], s[34:35]
	v_fma_f64 v[13:14], v[80:81], s[22:23], -v[11:12]
	v_fma_f64 v[11:12], v[80:81], s[22:23], v[11:12]
	v_add_f64 v[13:14], v[13:14], v[152:153]
	v_fma_f64 v[152:153], v[68:69], s[6:7], -v[156:157]
	v_add_f64 v[11:12], v[11:12], v[150:151]
	v_add_f64 v[13:14], v[152:153], v[13:14]
	v_fma_f64 v[152:153], v[70:71], s[6:7], v[158:159]
	v_add_f64 v[17:18], v[152:153], v[17:18]
	v_fma_f64 v[152:153], v[72:73], s[14:15], -v[160:161]
	v_add_f64 v[13:14], v[152:153], v[13:14]
	v_fma_f64 v[152:153], v[74:75], s[14:15], v[162:163]
	v_add_f64 v[17:18], v[152:153], v[17:18]
	v_fma_f64 v[152:153], v[76:77], s[12:13], -v[164:165]
	;; [unrolled: 4-line block ×3, first 2 shown]
	v_add_f64 v[152:153], v[152:153], v[13:14]
	v_mul_f64 v[13:14], v[92:93], s[20:21]
	v_fma_f64 v[154:155], v[86:87], s[16:17], v[13:14]
	v_fma_f64 v[13:14], v[86:87], s[16:17], -v[13:14]
	v_add_f64 v[154:155], v[154:155], v[17:18]
	v_fma_f64 v[17:18], v[68:69], s[6:7], v[156:157]
	v_mul_f64 v[156:157], v[106:107], s[30:31]
	v_add_f64 v[11:12], v[17:18], v[11:12]
	v_fma_f64 v[17:18], v[70:71], s[6:7], -v[158:159]
	v_mul_f64 v[158:159], v[104:105], s[30:31]
	v_add_f64 v[15:16], v[17:18], v[15:16]
	v_fma_f64 v[17:18], v[72:73], s[14:15], v[160:161]
	v_mul_f64 v[160:161], v[102:103], s[26:27]
	v_add_f64 v[11:12], v[17:18], v[11:12]
	v_fma_f64 v[17:18], v[74:75], s[14:15], -v[162:163]
	v_mul_f64 v[162:163], v[100:101], s[26:27]
	;; [unrolled: 6-line block ×3, first 2 shown]
	v_add_f64 v[15:16], v[17:18], v[15:16]
	v_fma_f64 v[17:18], v[84:85], s[16:17], v[168:169]
	v_mul_f64 v[168:169], v[94:95], s[38:39]
	v_add_f64 v[150:151], v[13:14], v[15:16]
	v_add_f64 v[148:149], v[17:18], v[11:12]
	v_mul_f64 v[11:12], v[114:115], s[36:37]
	v_mul_f64 v[15:16], v[112:113], s[36:37]
	v_fma_f64 v[13:14], v[80:81], s[16:17], -v[11:12]
	v_fma_f64 v[17:18], v[82:83], s[16:17], v[15:16]
	v_fma_f64 v[11:12], v[80:81], s[16:17], v[11:12]
	v_add_f64 v[13:14], v[13:14], v[146:147]
	v_add_f64 v[17:18], v[17:18], v[144:145]
	v_fma_f64 v[144:145], v[68:69], s[14:15], -v[156:157]
	v_add_f64 v[2:3], v[11:12], v[2:3]
	v_fma_f64 v[11:12], v[82:83], s[16:17], -v[15:16]
	v_mul_f64 v[15:16], v[112:113], s[28:29]
	v_add_f64 v[13:14], v[144:145], v[13:14]
	v_fma_f64 v[144:145], v[70:71], s[14:15], v[158:159]
	v_add_f64 v[0:1], v[11:12], v[0:1]
	v_fma_f64 v[11:12], v[68:69], s[14:15], v[156:157]
	v_mul_f64 v[156:157], v[106:107], s[24:25]
	v_mul_f64 v[106:107], v[106:107], s[20:21]
	v_add_f64 v[17:18], v[144:145], v[17:18]
	v_fma_f64 v[144:145], v[72:73], s[0:1], -v[160:161]
	v_add_f64 v[2:3], v[11:12], v[2:3]
	v_fma_f64 v[11:12], v[70:71], s[14:15], -v[158:159]
	v_mul_f64 v[158:159], v[104:105], s[24:25]
	v_mul_f64 v[104:105], v[104:105], s[20:21]
	v_add_f64 v[13:14], v[144:145], v[13:14]
	v_fma_f64 v[144:145], v[74:75], s[0:1], v[162:163]
	v_add_f64 v[0:1], v[11:12], v[0:1]
	v_fma_f64 v[11:12], v[72:73], s[0:1], v[160:161]
	v_mul_f64 v[160:161], v[102:103], s[40:41]
	v_mul_f64 v[102:103], v[102:103], s[38:39]
	v_add_f64 v[17:18], v[144:145], v[17:18]
	v_fma_f64 v[144:145], v[76:77], s[22:23], -v[164:165]
	v_add_f64 v[2:3], v[11:12], v[2:3]
	v_fma_f64 v[11:12], v[74:75], s[0:1], -v[162:163]
	v_mul_f64 v[162:163], v[100:101], s[40:41]
	;; [unrolled: 12-line block ×3, first 2 shown]
	v_mul_f64 v[96:97], v[96:97], s[18:19]
	v_add_f64 v[144:145], v[144:145], v[13:14]
	v_mul_f64 v[13:14], v[92:93], s[38:39]
	v_add_f64 v[11:12], v[11:12], v[0:1]
	v_fma_f64 v[0:1], v[84:85], s[12:13], v[168:169]
	v_mul_f64 v[168:169], v[94:95], s[18:19]
	v_fma_f64 v[146:147], v[86:87], s[12:13], v[13:14]
	v_fma_f64 v[13:14], v[86:87], s[12:13], -v[13:14]
	v_add_f64 v[0:1], v[0:1], v[2:3]
	v_add_f64 v[146:147], v[146:147], v[17:18]
	;; [unrolled: 1-line block ×3, first 2 shown]
	v_mul_f64 v[11:12], v[114:115], s[28:29]
	v_fma_f64 v[17:18], v[82:83], s[0:1], v[15:16]
	v_fma_f64 v[15:16], v[82:83], s[0:1], -v[15:16]
	v_fma_f64 v[13:14], v[80:81], s[0:1], -v[11:12]
	v_add_f64 v[17:18], v[17:18], v[124:125]
	v_fma_f64 v[124:125], v[68:69], s[12:13], -v[156:157]
	v_fma_f64 v[11:12], v[80:81], s[0:1], v[11:12]
	v_add_f64 v[15:16], v[15:16], v[120:121]
	v_add_f64 v[13:14], v[13:14], v[126:127]
	;; [unrolled: 1-line block ×4, first 2 shown]
	v_fma_f64 v[124:125], v[70:71], s[12:13], v[158:159]
	v_add_f64 v[17:18], v[124:125], v[17:18]
	v_fma_f64 v[124:125], v[72:73], s[22:23], -v[160:161]
	v_add_f64 v[13:14], v[124:125], v[13:14]
	v_fma_f64 v[124:125], v[74:75], s[22:23], v[162:163]
	v_add_f64 v[17:18], v[124:125], v[17:18]
	v_fma_f64 v[124:125], v[76:77], s[14:15], -v[164:165]
	v_add_f64 v[13:14], v[124:125], v[13:14]
	;; [unrolled: 4-line block ×3, first 2 shown]
	v_mul_f64 v[13:14], v[92:93], s[18:19]
	v_fma_f64 v[126:127], v[86:87], s[6:7], v[13:14]
	v_fma_f64 v[13:14], v[86:87], s[6:7], -v[13:14]
	v_add_f64 v[126:127], v[126:127], v[17:18]
	v_fma_f64 v[17:18], v[68:69], s[12:13], v[156:157]
	v_add_f64 v[11:12], v[17:18], v[11:12]
	v_fma_f64 v[17:18], v[70:71], s[12:13], -v[158:159]
	v_add_f64 v[15:16], v[17:18], v[15:16]
	v_fma_f64 v[17:18], v[72:73], s[22:23], v[160:161]
	v_add_f64 v[11:12], v[17:18], v[11:12]
	;; [unrolled: 4-line block ×4, first 2 shown]
	v_add_f64 v[120:121], v[17:18], v[11:12]
	v_mul_f64 v[11:12], v[114:115], s[30:31]
	v_mul_f64 v[15:16], v[112:113], s[30:31]
	v_fma_f64 v[112:113], v[68:69], s[16:17], -v[106:107]
	v_mul_f64 v[114:115], v[92:93], s[28:29]
	v_fma_f64 v[13:14], v[80:81], s[14:15], -v[11:12]
	v_fma_f64 v[17:18], v[82:83], s[14:15], v[15:16]
	v_fma_f64 v[11:12], v[80:81], s[14:15], v[11:12]
	v_add_f64 v[13:14], v[13:14], v[118:119]
	v_add_f64 v[17:18], v[17:18], v[116:117]
	;; [unrolled: 1-line block ×4, first 2 shown]
	v_fma_f64 v[112:113], v[70:71], s[16:17], v[104:105]
	v_add_f64 v[17:18], v[112:113], v[17:18]
	v_fma_f64 v[112:113], v[72:73], s[12:13], -v[102:103]
	v_add_f64 v[13:14], v[112:113], v[13:14]
	v_fma_f64 v[112:113], v[74:75], s[12:13], v[100:101]
	v_add_f64 v[17:18], v[112:113], v[17:18]
	v_fma_f64 v[112:113], v[76:77], s[6:7], -v[98:99]
	v_add_f64 v[13:14], v[112:113], v[13:14]
	v_fma_f64 v[112:113], v[78:79], s[6:7], v[96:97]
	v_add_f64 v[17:18], v[112:113], v[17:18]
	v_mul_f64 v[112:113], v[94:95], s[28:29]
	v_fma_f64 v[92:93], v[84:85], s[0:1], -v[112:113]
	v_add_f64 v[92:93], v[92:93], v[13:14]
	v_fma_f64 v[13:14], v[86:87], s[0:1], v[114:115]
	v_add_f64 v[94:95], v[13:14], v[17:18]
	v_fma_f64 v[13:14], v[82:83], s[14:15], -v[15:16]
	v_fma_f64 v[15:16], v[68:69], s[16:17], v[106:107]
	v_fma_f64 v[17:18], v[86:87], s[0:1], -v[114:115]
	v_add_f64 v[13:14], v[13:14], v[108:109]
	v_add_f64 v[11:12], v[15:16], v[11:12]
	v_fma_f64 v[15:16], v[70:71], s[16:17], -v[104:105]
	v_add_f64 v[13:14], v[15:16], v[13:14]
	v_fma_f64 v[15:16], v[72:73], s[12:13], v[102:103]
	v_add_f64 v[11:12], v[15:16], v[11:12]
	v_fma_f64 v[15:16], v[74:75], s[12:13], -v[100:101]
	v_add_f64 v[13:14], v[15:16], v[13:14]
	v_fma_f64 v[15:16], v[76:77], s[6:7], v[98:99]
	;; [unrolled: 4-line block ×3, first 2 shown]
	v_add_f64 v[98:99], v[17:18], v[13:14]
	v_add_f64 v[96:97], v[15:16], v[11:12]
	v_fma_f64 v[11:12], v[80:81], s[6:7], v[128:129]
	v_fma_f64 v[15:16], v[68:69], s[22:23], v[132:133]
	v_fma_f64 v[13:14], v[82:83], s[6:7], -v[130:131]
	v_fma_f64 v[68:69], v[72:73], s[16:17], v[136:137]
	v_fma_f64 v[17:18], v[70:71], s[22:23], -v[134:135]
	v_fma_f64 v[70:71], v[74:75], s[16:17], -v[138:139]
	v_add_f64 v[11:12], v[11:12], v[88:89]
	v_add_f64 v[13:14], v[13:14], v[90:91]
	;; [unrolled: 1-line block ×3, first 2 shown]
	v_fma_f64 v[15:16], v[76:77], s[0:1], v[140:141]
	v_add_f64 v[13:14], v[17:18], v[13:14]
	v_fma_f64 v[17:18], v[78:79], s[0:1], -v[142:143]
	v_add_f64 v[11:12], v[68:69], v[11:12]
	v_add_f64 v[13:14], v[70:71], v[13:14]
	;; [unrolled: 1-line block ×5, first 2 shown]
	v_mov_b32_e32 v11, 4
	v_mul_lo_u16 v12, v10, 13
	v_add_f64 v[6:7], v[6:7], v[13:14]
	v_lshlrev_b32_sdwa v237, v11, v12 dst_sel:DWORD dst_unused:UNUSED_PAD src0_sel:DWORD src1_sel:WORD_0
	ds_write_b128 v237, v[60:63] offset:16
	ds_write_b128 v237, v[64:67] offset:32
	;; [unrolled: 1-line block ×10, first 2 shown]
	v_and_b32_e32 v0, 0xff, v10
	ds_write_b128 v237, v[4:7] offset:176
	ds_write_b128 v237, v[56:59] offset:192
	ds_write_b128 v237, v[52:55]
	v_mul_lo_u16 v0, 0x4f, v0
	s_waitcnt lgkmcnt(0)
	s_barrier
	buffer_gl0_inv
	v_lshrrev_b16 v11, 10, v0
	v_mul_lo_u16 v0, v11, 13
	v_sub_nc_u16 v0, v10, v0
	v_and_b32_e32 v192, 0xff, v0
	v_mul_u32_u24_e32 v0, 12, v192
	v_lshlrev_b32_e32 v14, 4, v0
	ds_read_b128 v[0:3], v255 offset:832
	s_clause 0x1
	global_load_dwordx4 v[52:55], v14, s[2:3]
	global_load_dwordx4 v[56:59], v14, s[2:3] offset:16
	s_waitcnt vmcnt(1) lgkmcnt(0)
	v_mul_f64 v[4:5], v[2:3], v[54:55]
	v_mul_f64 v[6:7], v[0:1], v[54:55]
	v_fma_f64 v[0:1], v[0:1], v[52:53], -v[4:5]
	v_fma_f64 v[2:3], v[2:3], v[52:53], v[6:7]
	ds_read_b128 v[4:7], v255 offset:1664
	ds_read_b128 v[64:67], v255 offset:2496
	global_load_dwordx4 v[60:63], v14, s[2:3] offset:32
	s_waitcnt vmcnt(1) lgkmcnt(1)
	v_mul_f64 v[12:13], v[6:7], v[58:59]
	v_fma_f64 v[120:121], v[4:5], v[56:57], -v[12:13]
	v_mul_f64 v[4:5], v[4:5], v[58:59]
	v_fma_f64 v[122:123], v[6:7], v[56:57], v[4:5]
	s_waitcnt vmcnt(0) lgkmcnt(0)
	v_mul_f64 v[4:5], v[66:67], v[62:63]
	v_fma_f64 v[124:125], v[64:65], v[60:61], -v[4:5]
	v_mul_f64 v[4:5], v[64:65], v[62:63]
	v_fma_f64 v[126:127], v[66:67], v[60:61], v[4:5]
	global_load_dwordx4 v[64:67], v14, s[2:3] offset:48
	ds_read_b128 v[4:7], v255 offset:3328
	ds_read_b128 v[72:75], v255 offset:4160
	global_load_dwordx4 v[68:71], v14, s[2:3] offset:64
	s_waitcnt vmcnt(1) lgkmcnt(1)
	v_mul_f64 v[12:13], v[6:7], v[66:67]
	v_fma_f64 v[128:129], v[4:5], v[64:65], -v[12:13]
	v_mul_f64 v[4:5], v[4:5], v[66:67]
	v_fma_f64 v[130:131], v[6:7], v[64:65], v[4:5]
	s_waitcnt vmcnt(0) lgkmcnt(0)
	v_mul_f64 v[4:5], v[74:75], v[70:71]
	v_fma_f64 v[132:133], v[72:73], v[68:69], -v[4:5]
	v_mul_f64 v[4:5], v[72:73], v[70:71]
	v_fma_f64 v[134:135], v[74:75], v[68:69], v[4:5]
	global_load_dwordx4 v[72:75], v14, s[2:3] offset:80
	ds_read_b128 v[4:7], v255 offset:4992
	ds_read_b128 v[80:83], v255 offset:5824
	global_load_dwordx4 v[76:79], v14, s[2:3] offset:96
	s_waitcnt vmcnt(1) lgkmcnt(1)
	v_mul_f64 v[12:13], v[6:7], v[74:75]
	v_fma_f64 v[136:137], v[4:5], v[72:73], -v[12:13]
	v_mul_f64 v[4:5], v[4:5], v[74:75]
	v_fma_f64 v[138:139], v[6:7], v[72:73], v[4:5]
	s_waitcnt vmcnt(0) lgkmcnt(0)
	v_mul_f64 v[4:5], v[82:83], v[78:79]
	v_fma_f64 v[140:141], v[80:81], v[76:77], -v[4:5]
	v_mul_f64 v[4:5], v[80:81], v[78:79]
	v_add_f64 v[233:234], v[136:137], -v[140:141]
	v_fma_f64 v[142:143], v[82:83], v[76:77], v[4:5]
	global_load_dwordx4 v[80:83], v14, s[2:3] offset:112
	ds_read_b128 v[4:7], v255 offset:6656
	ds_read_b128 v[88:91], v255 offset:7488
	global_load_dwordx4 v[84:87], v14, s[2:3] offset:128
	v_add_f64 v[235:236], v[138:139], -v[142:143]
	v_mul_f64 v[240:241], v[235:236], s[34:35]
	s_waitcnt vmcnt(1) lgkmcnt(1)
	v_mul_f64 v[12:13], v[6:7], v[82:83]
	v_fma_f64 v[144:145], v[4:5], v[80:81], -v[12:13]
	v_mul_f64 v[4:5], v[4:5], v[82:83]
	v_add_f64 v[221:222], v[132:133], v[144:145]
	v_fma_f64 v[146:147], v[6:7], v[80:81], v[4:5]
	s_waitcnt vmcnt(0) lgkmcnt(0)
	v_mul_f64 v[4:5], v[90:91], v[86:87]
	v_add_f64 v[227:228], v[132:133], -v[144:145]
	v_add_f64 v[225:226], v[134:135], -v[146:147]
	v_fma_f64 v[152:153], v[88:89], v[84:85], -v[4:5]
	v_mul_f64 v[4:5], v[88:89], v[86:87]
	v_add_f64 v[223:224], v[134:135], v[146:147]
	v_mul_f64 v[238:239], v[227:228], s[20:21]
	v_add_f64 v[213:214], v[128:129], v[152:153]
	v_fma_f64 v[154:155], v[90:91], v[84:85], v[4:5]
	global_load_dwordx4 v[88:91], v14, s[2:3] offset:144
	ds_read_b128 v[4:7], v255 offset:8320
	ds_read_b128 v[96:99], v255 offset:9152
	global_load_dwordx4 v[92:95], v14, s[2:3] offset:160
	v_add_f64 v[219:220], v[128:129], -v[152:153]
	v_add_f64 v[217:218], v[130:131], -v[154:155]
	v_add_f64 v[215:216], v[130:131], v[154:155]
	s_waitcnt vmcnt(1) lgkmcnt(1)
	v_mul_f64 v[12:13], v[6:7], v[90:91]
	v_fma_f64 v[156:157], v[4:5], v[88:89], -v[12:13]
	v_mul_f64 v[4:5], v[4:5], v[90:91]
	v_add_f64 v[207:208], v[124:125], -v[156:157]
	v_fma_f64 v[158:159], v[6:7], v[88:89], v[4:5]
	s_waitcnt vmcnt(0) lgkmcnt(0)
	v_mul_f64 v[4:5], v[98:99], v[94:95]
	v_fma_f64 v[160:161], v[96:97], v[92:93], -v[4:5]
	v_mul_f64 v[4:5], v[96:97], v[94:95]
	v_fma_f64 v[162:163], v[98:99], v[92:93], v[4:5]
	global_load_dwordx4 v[96:99], v14, s[2:3] offset:176
	ds_read_b128 v[4:7], v255 offset:9984
	s_waitcnt vmcnt(0) lgkmcnt(0)
	v_mul_f64 v[12:13], v[4:5], v[98:99]
	v_fma_f64 v[164:165], v[6:7], v[96:97], v[12:13]
	v_mul_f64 v[6:7], v[6:7], v[98:99]
	v_add_f64 v[118:119], v[2:3], v[164:165]
	v_fma_f64 v[166:167], v[4:5], v[96:97], -v[6:7]
	v_add_f64 v[4:5], v[2:3], -v[164:165]
	v_add_f64 v[100:101], v[0:1], v[166:167]
	v_mul_f64 v[6:7], v[4:5], s[44:45]
	v_mul_f64 v[12:13], v[4:5], s[24:25]
	v_mul_f64 v[14:15], v[4:5], s[26:27]
	v_mul_f64 v[16:17], v[4:5], s[18:19]
	v_mul_f64 v[18:19], v[4:5], s[20:21]
	v_mul_f64 v[4:5], v[4:5], s[34:35]
	v_fma_f64 v[102:103], v[100:101], s[14:15], -v[6:7]
	v_fma_f64 v[104:105], v[100:101], s[14:15], v[6:7]
	v_fma_f64 v[106:107], v[100:101], s[12:13], -v[12:13]
	v_fma_f64 v[12:13], v[100:101], s[12:13], v[12:13]
	v_fma_f64 v[112:113], v[100:101], s[0:1], -v[14:15]
	v_fma_f64 v[14:15], v[100:101], s[0:1], v[14:15]
	v_fma_f64 v[172:173], v[100:101], s[6:7], -v[16:17]
	v_fma_f64 v[16:17], v[100:101], s[6:7], v[16:17]
	v_fma_f64 v[174:175], v[100:101], s[16:17], -v[18:19]
	v_fma_f64 v[18:19], v[100:101], s[16:17], v[18:19]
	v_fma_f64 v[176:177], v[100:101], s[22:23], -v[4:5]
	v_fma_f64 v[100:101], v[100:101], s[22:23], v[4:5]
	v_add_f64 v[4:5], v[0:1], -v[166:167]
	v_mul_f64 v[114:115], v[4:5], s[18:19]
	v_mul_f64 v[6:7], v[4:5], s[44:45]
	;; [unrolled: 1-line block ×6, first 2 shown]
	v_fma_f64 v[188:189], v[118:119], s[6:7], -v[114:115]
	v_fma_f64 v[148:149], v[118:119], s[14:15], v[6:7]
	v_fma_f64 v[178:179], v[118:119], s[14:15], -v[6:7]
	v_fma_f64 v[182:183], v[118:119], s[0:1], v[110:111]
	v_fma_f64 v[190:191], v[118:119], s[16:17], v[116:117]
	;; [unrolled: 1-line block ×3, first 2 shown]
	v_fma_f64 v[205:206], v[118:119], s[22:23], -v[4:5]
	ds_read_b128 v[4:7], v255
	v_fma_f64 v[186:187], v[118:119], s[6:7], v[114:115]
	v_fma_f64 v[180:181], v[118:119], s[12:13], v[108:109]
	v_fma_f64 v[108:109], v[118:119], s[12:13], -v[108:109]
	v_fma_f64 v[184:185], v[118:119], s[0:1], -v[110:111]
	;; [unrolled: 1-line block ×3, first 2 shown]
	s_waitcnt lgkmcnt(0)
	s_barrier
	buffer_gl0_inv
	v_add_f64 v[201:202], v[6:7], v[188:189]
	v_add_f64 v[188:189], v[122:123], -v[162:163]
	v_add_f64 v[114:115], v[4:5], v[112:113]
	v_add_f64 v[112:113], v[6:7], v[182:183]
	;; [unrolled: 1-line block ×5, first 2 shown]
	v_add_f64 v[190:191], v[120:121], -v[160:161]
	v_add_f64 v[168:169], v[4:5], v[0:1]
	v_add_f64 v[170:171], v[6:7], v[2:3]
	;; [unrolled: 1-line block ×15, first 2 shown]
	v_mul_f64 v[229:230], v[188:189], s[24:25]
	v_add_f64 v[178:179], v[122:123], v[162:163]
	v_add_f64 v[174:175], v[6:7], v[205:206]
	v_add_f64 v[205:206], v[126:127], -v[158:159]
	v_add_f64 v[116:117], v[6:7], v[184:185]
	v_add_f64 v[184:185], v[6:7], v[197:198]
	v_mul_f64 v[231:232], v[190:191], s[24:25]
	v_add_f64 v[197:198], v[124:125], v[156:157]
	v_add_f64 v[104:105], v[6:7], v[180:181]
	;; [unrolled: 1-line block ×5, first 2 shown]
	v_fma_f64 v[4:5], v[176:177], s[12:13], -v[229:230]
	v_fma_f64 v[229:230], v[176:177], s[12:13], v[229:230]
	v_add_f64 v[0:1], v[4:5], v[0:1]
	v_fma_f64 v[4:5], v[178:179], s[12:13], v[231:232]
	v_add_f64 v[150:151], v[229:230], v[150:151]
	v_fma_f64 v[229:230], v[178:179], s[12:13], -v[231:232]
	v_mul_f64 v[231:232], v[219:220], s[36:37]
	v_add_f64 v[2:3], v[4:5], v[2:3]
	v_mul_f64 v[4:5], v[205:206], s[26:27]
	v_add_f64 v[148:149], v[229:230], v[148:149]
	v_mul_f64 v[229:230], v[217:218], s[36:37]
	v_fma_f64 v[6:7], v[197:198], s[0:1], -v[4:5]
	v_fma_f64 v[4:5], v[197:198], s[0:1], v[4:5]
	v_add_f64 v[0:1], v[6:7], v[0:1]
	v_mul_f64 v[6:7], v[207:208], s[26:27]
	v_add_f64 v[4:5], v[4:5], v[150:151]
	v_fma_f64 v[12:13], v[199:200], s[0:1], v[6:7]
	v_fma_f64 v[6:7], v[199:200], s[0:1], -v[6:7]
	v_add_f64 v[2:3], v[12:13], v[2:3]
	v_mul_f64 v[12:13], v[217:218], s[18:19]
	v_add_f64 v[6:7], v[6:7], v[148:149]
	v_fma_f64 v[14:15], v[213:214], s[6:7], -v[12:13]
	v_fma_f64 v[12:13], v[213:214], s[6:7], v[12:13]
	v_add_f64 v[0:1], v[14:15], v[0:1]
	v_mul_f64 v[14:15], v[219:220], s[18:19]
	v_add_f64 v[4:5], v[12:13], v[4:5]
	v_fma_f64 v[16:17], v[215:216], s[6:7], v[14:15]
	v_fma_f64 v[12:13], v[215:216], s[6:7], -v[14:15]
	v_add_f64 v[2:3], v[16:17], v[2:3]
	v_mul_f64 v[16:17], v[225:226], s[20:21]
	v_add_f64 v[6:7], v[12:13], v[6:7]
	v_fma_f64 v[18:19], v[221:222], s[16:17], -v[16:17]
	v_fma_f64 v[12:13], v[221:222], s[16:17], v[16:17]
	v_mul_f64 v[16:17], v[205:206], s[34:35]
	v_add_f64 v[18:19], v[18:19], v[0:1]
	v_fma_f64 v[0:1], v[223:224], s[16:17], v[238:239]
	v_add_f64 v[4:5], v[12:13], v[4:5]
	v_fma_f64 v[12:13], v[223:224], s[16:17], -v[238:239]
	v_mul_f64 v[238:239], v[225:226], s[28:29]
	v_add_f64 v[102:103], v[0:1], v[2:3]
	v_add_f64 v[0:1], v[136:137], v[140:141]
	;; [unrolled: 1-line block ×3, first 2 shown]
	v_fma_f64 v[2:3], v[0:1], s[22:23], -v[240:241]
	v_fma_f64 v[12:13], v[0:1], s[22:23], v[240:241]
	v_mul_f64 v[240:241], v[227:228], s[28:29]
	v_add_f64 v[100:101], v[2:3], v[18:19]
	v_add_f64 v[2:3], v[138:139], v[142:143]
	v_mul_f64 v[18:19], v[233:234], s[34:35]
	v_add_f64 v[148:149], v[12:13], v[4:5]
	v_mul_f64 v[4:5], v[188:189], s[18:19]
	v_mul_f64 v[12:13], v[190:191], s[18:19]
	v_fma_f64 v[14:15], v[2:3], s[22:23], -v[18:19]
	v_fma_f64 v[242:243], v[2:3], s[22:23], v[18:19]
	v_fma_f64 v[18:19], v[197:198], s[22:23], -v[16:17]
	v_add_f64 v[150:151], v[14:15], v[6:7]
	v_fma_f64 v[6:7], v[176:177], s[6:7], -v[4:5]
	v_fma_f64 v[14:15], v[178:179], s[6:7], v[12:13]
	v_add_f64 v[102:103], v[242:243], v[102:103]
	v_mul_f64 v[242:243], v[235:236], s[30:31]
	v_fma_f64 v[4:5], v[176:177], s[6:7], v[4:5]
	v_fma_f64 v[12:13], v[178:179], s[6:7], -v[12:13]
	v_add_f64 v[6:7], v[6:7], v[106:107]
	v_add_f64 v[14:15], v[14:15], v[104:105]
	;; [unrolled: 1-line block ×5, first 2 shown]
	v_mul_f64 v[18:19], v[207:208], s[34:35]
	v_fma_f64 v[104:105], v[199:200], s[22:23], v[18:19]
	v_add_f64 v[14:15], v[104:105], v[14:15]
	v_fma_f64 v[104:105], v[213:214], s[16:17], -v[229:230]
	v_add_f64 v[6:7], v[104:105], v[6:7]
	v_fma_f64 v[104:105], v[215:216], s[16:17], v[231:232]
	v_add_f64 v[14:15], v[104:105], v[14:15]
	v_fma_f64 v[104:105], v[221:222], s[0:1], -v[238:239]
	v_add_f64 v[6:7], v[104:105], v[6:7]
	;; [unrolled: 4-line block ×3, first 2 shown]
	v_mul_f64 v[6:7], v[233:234], s[30:31]
	v_fma_f64 v[106:107], v[2:3], s[14:15], v[6:7]
	v_fma_f64 v[6:7], v[2:3], s[14:15], -v[6:7]
	v_add_f64 v[106:107], v[106:107], v[14:15]
	v_fma_f64 v[14:15], v[197:198], s[22:23], v[16:17]
	v_mul_f64 v[16:17], v[205:206], s[42:43]
	v_add_f64 v[4:5], v[14:15], v[4:5]
	v_fma_f64 v[14:15], v[199:200], s[22:23], -v[18:19]
	v_fma_f64 v[18:19], v[197:198], s[6:7], -v[16:17]
	v_add_f64 v[12:13], v[14:15], v[12:13]
	v_fma_f64 v[14:15], v[213:214], s[16:17], v[229:230]
	v_mul_f64 v[229:230], v[217:218], s[30:31]
	v_add_f64 v[4:5], v[14:15], v[4:5]
	v_fma_f64 v[14:15], v[215:216], s[16:17], -v[231:232]
	v_mul_f64 v[231:232], v[219:220], s[30:31]
	v_add_f64 v[12:13], v[14:15], v[12:13]
	v_fma_f64 v[14:15], v[221:222], s[0:1], v[238:239]
	v_mul_f64 v[238:239], v[225:226], s[24:25]
	v_add_f64 v[4:5], v[14:15], v[4:5]
	v_fma_f64 v[14:15], v[223:224], s[0:1], -v[240:241]
	v_mul_f64 v[240:241], v[227:228], s[24:25]
	v_add_f64 v[12:13], v[14:15], v[12:13]
	v_fma_f64 v[14:15], v[0:1], s[14:15], v[242:243]
	v_mul_f64 v[242:243], v[235:236], s[20:21]
	v_add_f64 v[110:111], v[6:7], v[12:13]
	v_add_f64 v[108:109], v[14:15], v[4:5]
	v_mul_f64 v[4:5], v[188:189], s[34:35]
	v_mul_f64 v[12:13], v[190:191], s[34:35]
	v_fma_f64 v[6:7], v[176:177], s[22:23], -v[4:5]
	v_fma_f64 v[14:15], v[178:179], s[22:23], v[12:13]
	v_fma_f64 v[4:5], v[176:177], s[22:23], v[4:5]
	v_fma_f64 v[12:13], v[178:179], s[22:23], -v[12:13]
	v_add_f64 v[6:7], v[6:7], v[114:115]
	v_add_f64 v[14:15], v[14:15], v[112:113]
	;; [unrolled: 1-line block ×5, first 2 shown]
	v_mul_f64 v[18:19], v[207:208], s[42:43]
	v_fma_f64 v[112:113], v[199:200], s[6:7], v[18:19]
	v_add_f64 v[14:15], v[112:113], v[14:15]
	v_fma_f64 v[112:113], v[213:214], s[14:15], -v[229:230]
	v_add_f64 v[6:7], v[112:113], v[6:7]
	v_fma_f64 v[112:113], v[215:216], s[14:15], v[231:232]
	v_add_f64 v[14:15], v[112:113], v[14:15]
	v_fma_f64 v[112:113], v[221:222], s[12:13], -v[238:239]
	v_add_f64 v[6:7], v[112:113], v[6:7]
	v_fma_f64 v[112:113], v[223:224], s[12:13], v[240:241]
	v_add_f64 v[14:15], v[112:113], v[14:15]
	v_fma_f64 v[112:113], v[0:1], s[16:17], -v[242:243]
	v_add_f64 v[112:113], v[112:113], v[6:7]
	v_mul_f64 v[6:7], v[233:234], s[20:21]
	v_fma_f64 v[114:115], v[2:3], s[16:17], v[6:7]
	v_fma_f64 v[6:7], v[2:3], s[16:17], -v[6:7]
	v_add_f64 v[114:115], v[114:115], v[14:15]
	v_fma_f64 v[14:15], v[197:198], s[6:7], v[16:17]
	v_mul_f64 v[16:17], v[205:206], s[30:31]
	v_add_f64 v[4:5], v[14:15], v[4:5]
	v_fma_f64 v[14:15], v[199:200], s[6:7], -v[18:19]
	v_fma_f64 v[18:19], v[197:198], s[14:15], -v[16:17]
	v_fma_f64 v[16:17], v[197:198], s[14:15], v[16:17]
	v_add_f64 v[12:13], v[14:15], v[12:13]
	v_fma_f64 v[14:15], v[213:214], s[14:15], v[229:230]
	v_add_f64 v[4:5], v[14:15], v[4:5]
	v_fma_f64 v[14:15], v[215:216], s[14:15], -v[231:232]
	v_add_f64 v[12:13], v[14:15], v[12:13]
	v_fma_f64 v[14:15], v[221:222], s[12:13], v[238:239]
	v_add_f64 v[4:5], v[14:15], v[4:5]
	v_fma_f64 v[14:15], v[223:224], s[12:13], -v[240:241]
	v_add_f64 v[12:13], v[14:15], v[12:13]
	v_fma_f64 v[14:15], v[0:1], s[16:17], v[242:243]
	v_add_f64 v[118:119], v[6:7], v[12:13]
	v_mul_f64 v[12:13], v[188:189], s[36:37]
	v_add_f64 v[116:117], v[14:15], v[4:5]
	v_mul_f64 v[14:15], v[190:191], s[36:37]
	v_fma_f64 v[4:5], v[176:177], s[16:17], -v[12:13]
	v_fma_f64 v[12:13], v[176:177], s[16:17], v[12:13]
	v_fma_f64 v[6:7], v[178:179], s[16:17], v[14:15]
	v_fma_f64 v[14:15], v[178:179], s[16:17], -v[14:15]
	v_add_f64 v[4:5], v[4:5], v[211:212]
	v_add_f64 v[12:13], v[12:13], v[203:204]
	;; [unrolled: 1-line block ×5, first 2 shown]
	v_mul_f64 v[18:19], v[207:208], s[30:31]
	v_add_f64 v[12:13], v[16:17], v[12:13]
	v_fma_f64 v[209:210], v[199:200], s[14:15], v[18:19]
	v_fma_f64 v[16:17], v[199:200], s[14:15], -v[18:19]
	v_add_f64 v[6:7], v[209:210], v[6:7]
	v_mul_f64 v[209:210], v[217:218], s[26:27]
	v_add_f64 v[14:15], v[16:17], v[14:15]
	v_fma_f64 v[211:212], v[213:214], s[0:1], -v[209:210]
	v_fma_f64 v[16:17], v[213:214], s[0:1], v[209:210]
	v_mul_f64 v[209:210], v[205:206], s[24:25]
	v_add_f64 v[4:5], v[211:212], v[4:5]
	v_mul_f64 v[211:212], v[219:220], s[26:27]
	v_add_f64 v[12:13], v[16:17], v[12:13]
	v_fma_f64 v[229:230], v[215:216], s[0:1], v[211:212]
	v_fma_f64 v[16:17], v[215:216], s[0:1], -v[211:212]
	v_mul_f64 v[211:212], v[207:208], s[24:25]
	v_add_f64 v[6:7], v[229:230], v[6:7]
	v_mul_f64 v[229:230], v[225:226], s[40:41]
	v_add_f64 v[14:15], v[16:17], v[14:15]
	v_fma_f64 v[231:232], v[221:222], s[22:23], -v[229:230]
	v_fma_f64 v[16:17], v[221:222], s[22:23], v[229:230]
	v_mul_f64 v[229:230], v[217:218], s[40:41]
	v_add_f64 v[4:5], v[231:232], v[4:5]
	v_mul_f64 v[231:232], v[227:228], s[40:41]
	v_add_f64 v[12:13], v[16:17], v[12:13]
	v_fma_f64 v[238:239], v[223:224], s[22:23], v[231:232]
	v_fma_f64 v[16:17], v[223:224], s[22:23], -v[231:232]
	v_mul_f64 v[231:232], v[219:220], s[40:41]
	v_add_f64 v[6:7], v[238:239], v[6:7]
	v_mul_f64 v[238:239], v[235:236], s[38:39]
	v_add_f64 v[14:15], v[16:17], v[14:15]
	v_fma_f64 v[240:241], v[0:1], s[12:13], -v[238:239]
	v_fma_f64 v[16:17], v[0:1], s[12:13], v[238:239]
	v_mul_f64 v[238:239], v[225:226], s[30:31]
	v_add_f64 v[4:5], v[240:241], v[4:5]
	v_mul_f64 v[240:241], v[233:234], s[38:39]
	v_add_f64 v[201:202], v[16:17], v[12:13]
	v_mul_f64 v[12:13], v[188:189], s[28:29]
	v_mul_f64 v[16:17], v[190:191], s[28:29]
	v_fma_f64 v[18:19], v[2:3], s[12:13], -v[240:241]
	v_fma_f64 v[242:243], v[2:3], s[12:13], v[240:241]
	v_mul_f64 v[240:241], v[227:228], s[30:31]
	v_add_f64 v[203:204], v[18:19], v[14:15]
	v_fma_f64 v[14:15], v[176:177], s[0:1], -v[12:13]
	v_fma_f64 v[18:19], v[178:179], s[0:1], v[16:17]
	v_add_f64 v[6:7], v[242:243], v[6:7]
	v_mul_f64 v[242:243], v[235:236], s[18:19]
	v_fma_f64 v[12:13], v[176:177], s[0:1], v[12:13]
	v_fma_f64 v[16:17], v[178:179], s[0:1], -v[16:17]
	v_add_f64 v[14:15], v[14:15], v[195:196]
	v_add_f64 v[18:19], v[18:19], v[193:194]
	v_fma_f64 v[193:194], v[197:198], s[12:13], -v[209:210]
	v_add_f64 v[12:13], v[12:13], v[186:187]
	v_add_f64 v[16:17], v[16:17], v[184:185]
	;; [unrolled: 1-line block ×3, first 2 shown]
	v_fma_f64 v[193:194], v[199:200], s[12:13], v[211:212]
	v_add_f64 v[18:19], v[193:194], v[18:19]
	v_fma_f64 v[193:194], v[213:214], s[22:23], -v[229:230]
	v_add_f64 v[14:15], v[193:194], v[14:15]
	v_fma_f64 v[193:194], v[215:216], s[22:23], v[231:232]
	v_add_f64 v[18:19], v[193:194], v[18:19]
	v_fma_f64 v[193:194], v[221:222], s[14:15], -v[238:239]
	v_add_f64 v[14:15], v[193:194], v[14:15]
	;; [unrolled: 4-line block ×3, first 2 shown]
	v_mul_f64 v[14:15], v[233:234], s[18:19]
	v_fma_f64 v[195:196], v[2:3], s[6:7], v[14:15]
	v_fma_f64 v[14:15], v[2:3], s[6:7], -v[14:15]
	v_add_f64 v[195:196], v[195:196], v[18:19]
	v_fma_f64 v[18:19], v[197:198], s[12:13], v[209:210]
	v_mul_f64 v[209:210], v[225:226], s[18:19]
	v_add_f64 v[12:13], v[18:19], v[12:13]
	v_fma_f64 v[18:19], v[199:200], s[12:13], -v[211:212]
	v_mul_f64 v[211:212], v[227:228], s[18:19]
	v_add_f64 v[16:17], v[18:19], v[16:17]
	v_fma_f64 v[18:19], v[213:214], s[22:23], v[229:230]
	v_add_f64 v[12:13], v[18:19], v[12:13]
	v_fma_f64 v[18:19], v[215:216], s[22:23], -v[231:232]
	v_add_f64 v[16:17], v[18:19], v[16:17]
	v_fma_f64 v[18:19], v[221:222], s[14:15], v[238:239]
	v_add_f64 v[12:13], v[18:19], v[12:13]
	v_fma_f64 v[18:19], v[223:224], s[14:15], -v[240:241]
	v_add_f64 v[16:17], v[18:19], v[16:17]
	v_fma_f64 v[18:19], v[0:1], s[6:7], v[242:243]
	v_add_f64 v[186:187], v[14:15], v[16:17]
	v_add_f64 v[184:185], v[18:19], v[12:13]
	v_mul_f64 v[12:13], v[188:189], s[30:31]
	v_mul_f64 v[16:17], v[190:191], s[30:31]
	v_mul_f64 v[188:189], v[205:206], s[20:21]
	v_mul_f64 v[190:191], v[207:208], s[20:21]
	v_mul_f64 v[205:206], v[217:218], s[38:39]
	v_mul_f64 v[207:208], v[219:220], s[38:39]
	v_mul_f64 v[217:218], v[235:236], s[28:29]
	v_mul_f64 v[219:220], v[233:234], s[28:29]
	v_fma_f64 v[14:15], v[176:177], s[14:15], -v[12:13]
	v_fma_f64 v[18:19], v[178:179], s[14:15], v[16:17]
	v_fma_f64 v[12:13], v[176:177], s[14:15], v[12:13]
	v_add_f64 v[14:15], v[14:15], v[182:183]
	v_add_f64 v[18:19], v[18:19], v[180:181]
	v_fma_f64 v[180:181], v[197:198], s[16:17], -v[188:189]
	v_add_f64 v[12:13], v[12:13], v[172:173]
	v_fma_f64 v[172:173], v[213:214], s[12:13], v[205:206]
	v_add_f64 v[14:15], v[180:181], v[14:15]
	v_fma_f64 v[180:181], v[199:200], s[16:17], v[190:191]
	v_add_f64 v[18:19], v[180:181], v[18:19]
	v_fma_f64 v[180:181], v[213:214], s[12:13], -v[205:206]
	v_add_f64 v[14:15], v[180:181], v[14:15]
	v_fma_f64 v[180:181], v[215:216], s[12:13], v[207:208]
	v_add_f64 v[18:19], v[180:181], v[18:19]
	v_fma_f64 v[180:181], v[221:222], s[6:7], -v[209:210]
	;; [unrolled: 4-line block ×3, first 2 shown]
	v_fma_f64 v[0:1], v[0:1], s[0:1], v[217:218]
	v_add_f64 v[180:181], v[180:181], v[14:15]
	v_fma_f64 v[14:15], v[2:3], s[0:1], v[219:220]
	v_fma_f64 v[2:3], v[2:3], s[0:1], -v[219:220]
	v_add_f64 v[182:183], v[14:15], v[18:19]
	v_fma_f64 v[14:15], v[178:179], s[14:15], -v[16:17]
	v_fma_f64 v[16:17], v[197:198], s[16:17], v[188:189]
	v_fma_f64 v[18:19], v[199:200], s[16:17], -v[190:191]
	v_add_f64 v[14:15], v[14:15], v[174:175]
	v_add_f64 v[12:13], v[16:17], v[12:13]
	v_fma_f64 v[174:175], v[215:216], s[12:13], -v[207:208]
	v_fma_f64 v[16:17], v[221:222], s[6:7], v[209:210]
	v_add_f64 v[14:15], v[18:19], v[14:15]
	v_add_f64 v[12:13], v[172:173], v[12:13]
	v_fma_f64 v[18:19], v[223:224], s[6:7], -v[211:212]
                                        ; implicit-def: $vgpr172_vgpr173
	v_add_f64 v[14:15], v[174:175], v[14:15]
	v_add_f64 v[12:13], v[16:17], v[12:13]
	;; [unrolled: 1-line block ×5, first 2 shown]
                                        ; implicit-def: $vgpr168_vgpr169
	v_add_f64 v[2:3], v[2:3], v[14:15]
	v_add_f64 v[14:15], v[170:171], v[122:123]
	;; [unrolled: 1-line block ×21, first 2 shown]
	v_mov_b32_e32 v12, 0xa9
	v_mul_u32_u24_sdwa v11, v11, v12 dst_sel:DWORD dst_unused:UNUSED_PAD src0_sel:WORD_0 src1_sel:DWORD
	v_add_lshl_u32 v192, v11, v192, 4
	v_add_f64 v[122:123], v[14:15], v[164:165]
	ds_write_b128 v192, v[100:103] offset:208
	ds_write_b128 v192, v[104:107] offset:416
	;; [unrolled: 1-line block ×11, first 2 shown]
	ds_write_b128 v192, v[120:123]
	ds_write_b128 v192, v[148:151] offset:2496
	s_waitcnt lgkmcnt(0)
	s_barrier
	buffer_gl0_inv
	ds_read_b128 v[160:163], v255
	ds_read_b128 v[156:159], v255 offset:832
	ds_read_b128 v[120:123], v255 offset:5408
	;; [unrolled: 1-line block ×11, first 2 shown]
                                        ; implicit-def: $vgpr164_vgpr165
	s_and_saveexec_b32 s0, vcc_lo
	s_cbranch_execz .LBB0_3
; %bb.2:
	ds_read_b128 v[148:151], v255 offset:2496
	ds_read_b128 v[168:171], v255 offset:5200
	;; [unrolled: 1-line block ×4, first 2 shown]
.LBB0_3:
	s_or_b32 exec_lo, exec_lo, s0
	v_mad_u64_u32 v[10:11], null, v21, 48, s[2:3]
	v_add_nc_u32_e32 v20, 0x9c, v21
	v_add_co_u32 v0, s0, 0x800, v10
	v_add_co_ci_u32_e64 v1, s0, 0, v11, s0
	v_add_co_u32 v4, s0, 0x1380, v10
	v_add_co_ci_u32_e64 v5, s0, 0, v11, s0
	global_load_dwordx4 v[100:103], v[0:1], off offset:448
	v_add_co_u32 v6, s0, 0x9c0, v10
	global_load_dwordx4 v[104:107], v[4:5], off offset:16
	v_add_co_ci_u32_e64 v7, s0, 0, v11, s0
	s_waitcnt vmcnt(1) lgkmcnt(7)
	v_mul_f64 v[0:1], v[114:115], v[102:103]
	v_mul_f64 v[2:3], v[112:113], v[102:103]
	v_fma_f64 v[0:1], v[112:113], v[100:101], -v[0:1]
	v_fma_f64 v[2:3], v[114:115], v[100:101], v[2:3]
	s_clause 0x1
	global_load_dwordx4 v[116:119], v[6:7], off offset:16
	global_load_dwordx4 v[112:115], v[6:7], off offset:32
	s_waitcnt vmcnt(1)
	v_mul_f64 v[6:7], v[122:123], v[118:119]
	v_fma_f64 v[12:13], v[120:121], v[116:117], -v[6:7]
	v_mul_f64 v[6:7], v[120:121], v[118:119]
	v_add_f64 v[12:13], v[160:161], -v[12:13]
	v_fma_f64 v[14:15], v[122:123], v[116:117], v[6:7]
	s_waitcnt vmcnt(0) lgkmcnt(3)
	v_mul_f64 v[6:7], v[126:127], v[114:115]
	v_fma_f64 v[199:200], v[160:161], 2.0, -v[12:13]
	v_add_f64 v[14:15], v[162:163], -v[14:15]
	v_fma_f64 v[16:17], v[124:125], v[112:113], -v[6:7]
	v_mul_f64 v[6:7], v[124:125], v[114:115]
	v_fma_f64 v[201:202], v[162:163], 2.0, -v[14:15]
	v_add_f64 v[16:17], v[0:1], -v[16:17]
	v_fma_f64 v[18:19], v[126:127], v[112:113], v[6:7]
	v_add_co_u32 v6, s0, 0x1000, v10
	v_add_co_ci_u32_e64 v7, s0, 0, v11, s0
	s_clause 0x1
	global_load_dwordx4 v[120:123], v[6:7], off offset:896
	global_load_dwordx4 v[124:127], v[4:5], off offset:32
	buffer_store_dword v21, off, s[48:51], 0 offset:24 ; 4-byte Folded Spill
	v_add_nc_u32_e32 v21, -13, v21
	v_cndmask_b32_e32 v20, v21, v20, vcc_lo
	v_mul_i32_i24_e32 v21, 48, v20
	v_mul_hi_i32_i24_e32 v20, 48, v20
	v_add_f64 v[18:19], v[2:3], -v[18:19]
	v_add_f64 v[162:163], v[14:15], v[16:17]
	v_fma_f64 v[0:1], v[0:1], 2.0, -v[16:17]
	v_add_co_u32 v21, s0, s2, v21
	v_add_co_ci_u32_e64 v20, s0, s3, v20, s0
	v_add_f64 v[160:161], v[12:13], -v[18:19]
	v_fma_f64 v[2:3], v[2:3], 2.0, -v[18:19]
	v_add_f64 v[0:1], v[199:200], -v[0:1]
	v_add_f64 v[2:3], v[201:202], -v[2:3]
	s_waitcnt vmcnt(1)
	v_mul_f64 v[4:5], v[146:147], v[122:123]
	v_mul_f64 v[6:7], v[144:145], v[122:123]
	v_fma_f64 v[4:5], v[144:145], v[120:121], -v[4:5]
	v_mul_f64 v[144:145], v[110:111], v[106:107]
	v_fma_f64 v[6:7], v[146:147], v[120:121], v[6:7]
	v_fma_f64 v[176:177], v[108:109], v[104:105], -v[144:145]
	v_mul_f64 v[108:109], v[108:109], v[106:107]
	v_fma_f64 v[178:179], v[110:111], v[104:105], v[108:109]
	s_waitcnt vmcnt(0) lgkmcnt(1)
	v_mul_f64 v[108:109], v[138:139], v[126:127]
	v_fma_f64 v[180:181], v[136:137], v[124:125], -v[108:109]
	v_mul_f64 v[108:109], v[136:137], v[126:127]
	v_add_f64 v[180:181], v[4:5], -v[180:181]
	v_fma_f64 v[182:183], v[138:139], v[124:125], v[108:109]
	v_add_co_u32 v108, s0, 0x1800, v10
	v_add_co_ci_u32_e64 v109, s0, 0, v11, s0
	v_add_co_u32 v184, s0, 0x9c0, v21
	v_add_co_ci_u32_e64 v185, s0, 0, v20, s0
	s_clause 0x1
	global_load_dwordx4 v[136:139], v[108:109], off offset:1344
	global_load_dwordx4 v[22:25], v[184:185], off offset:16
	v_add_co_u32 v10, s0, 0x1d40, v10
	v_add_co_ci_u32_e64 v11, s0, 0, v11, s0
	v_add_f64 v[182:183], v[6:7], -v[182:183]
	s_waitcnt vmcnt(1)
	v_mul_f64 v[144:145], v[142:143], v[138:139]
	v_fma_f64 v[186:187], v[140:141], v[136:137], -v[144:145]
	v_mul_f64 v[140:141], v[140:141], v[138:139]
	v_fma_f64 v[188:189], v[142:143], v[136:137], v[140:141]
	s_clause 0x1
	global_load_dwordx4 v[144:147], v[10:11], off offset:16
	global_load_dwordx4 v[140:143], v[10:11], off offset:32
	s_waitcnt vmcnt(1)
	v_mul_f64 v[10:11], v[134:135], v[146:147]
	v_fma_f64 v[10:11], v[132:133], v[144:145], -v[10:11]
	v_mul_f64 v[132:133], v[132:133], v[146:147]
	v_add_f64 v[10:11], v[152:153], -v[10:11]
	v_fma_f64 v[190:191], v[134:135], v[144:145], v[132:133]
	s_waitcnt vmcnt(0) lgkmcnt(0)
	v_mul_f64 v[132:133], v[130:131], v[142:143]
	v_fma_f64 v[193:194], v[128:129], v[140:141], -v[132:133]
	v_mul_f64 v[128:129], v[128:129], v[142:143]
	v_add_f64 v[193:194], v[186:187], -v[193:194]
	v_fma_f64 v[195:196], v[130:131], v[140:141], v[128:129]
	v_add_co_u32 v128, s0, 0x800, v21
	v_add_co_ci_u32_e64 v129, s0, 0, v20, s0
	s_clause 0x1
	global_load_dwordx4 v[26:29], v[128:129], off offset:448
	global_load_dwordx4 v[132:135], v[184:185], off offset:32
	v_add_f64 v[195:196], v[188:189], -v[195:196]
	s_waitcnt vmcnt(1)
	v_mul_f64 v[184:185], v[170:171], v[28:29]
	v_fma_f64 v[184:185], v[168:169], v[26:27], -v[184:185]
	v_mul_f64 v[168:169], v[168:169], v[28:29]
	buffer_store_dword v26, off, s[48:51], 0 offset:308 ; 4-byte Folded Spill
	buffer_store_dword v27, off, s[48:51], 0 offset:312 ; 4-byte Folded Spill
	;; [unrolled: 1-line block ×4, first 2 shown]
	v_fma_f64 v[168:169], v[170:171], v[26:27], v[168:169]
	v_mul_f64 v[170:171], v[174:175], v[24:25]
	v_fma_f64 v[170:171], v[172:173], v[22:23], -v[170:171]
	v_mul_f64 v[172:173], v[172:173], v[24:25]
	buffer_store_dword v22, off, s[48:51], 0 offset:292 ; 4-byte Folded Spill
	buffer_store_dword v23, off, s[48:51], 0 offset:296 ; 4-byte Folded Spill
	;; [unrolled: 1-line block ×4, first 2 shown]
	ds_write_b128 v255, v[160:163] offset:8112
	v_fma_f64 v[172:173], v[174:175], v[22:23], v[172:173]
	s_waitcnt vmcnt(0)
	v_mul_f64 v[174:175], v[166:167], v[134:135]
	v_fma_f64 v[174:175], v[164:165], v[132:133], -v[174:175]
	v_mul_f64 v[164:165], v[164:165], v[134:135]
	v_fma_f64 v[197:198], v[166:167], v[132:133], v[164:165]
	v_fma_f64 v[164:165], v[12:13], 2.0, -v[160:161]
	v_add_f64 v[12:13], v[156:157], -v[176:177]
	v_fma_f64 v[166:167], v[14:15], 2.0, -v[162:163]
	v_add_f64 v[14:15], v[158:159], -v[178:179]
	v_add_f64 v[16:17], v[168:169], -v[197:198]
	v_fma_f64 v[176:177], v[156:157], 2.0, -v[12:13]
	v_add_f64 v[156:157], v[12:13], -v[182:183]
	v_fma_f64 v[178:179], v[158:159], 2.0, -v[14:15]
	v_add_f64 v[158:159], v[14:15], v[180:181]
	v_fma_f64 v[160:161], v[12:13], 2.0, -v[156:157]
	v_add_f64 v[12:13], v[154:155], -v[190:191]
	v_fma_f64 v[162:163], v[14:15], 2.0, -v[158:159]
	v_fma_f64 v[14:15], v[152:153], 2.0, -v[10:11]
	v_add_f64 v[152:153], v[10:11], -v[195:196]
	ds_write_b128 v255, v[156:159] offset:8944
	v_fma_f64 v[190:191], v[154:155], 2.0, -v[12:13]
	v_add_f64 v[154:155], v[12:13], v[193:194]
	ds_write_b128 v255, v[152:155] offset:9776
	ds_write_b128 v255, v[164:167] offset:2704
	v_fma_f64 v[156:157], v[10:11], 2.0, -v[152:153]
	v_fma_f64 v[158:159], v[12:13], 2.0, -v[154:155]
	;; [unrolled: 1-line block ×4, first 2 shown]
	ds_write_b128 v255, v[0:3] offset:5408
	ds_write_b128 v255, v[160:163] offset:3536
	v_fma_f64 v[0:1], v[4:5], 2.0, -v[180:181]
	v_fma_f64 v[2:3], v[6:7], 2.0, -v[182:183]
	v_add_f64 v[10:11], v[148:149], -v[170:171]
	v_add_f64 v[12:13], v[150:151], -v[172:173]
	;; [unrolled: 1-line block ×4, first 2 shown]
	ds_write_b128 v255, v[0:3] offset:6240
	ds_write_b128 v255, v[156:159] offset:4368
	v_fma_f64 v[4:5], v[176:177], 2.0, -v[0:1]
	v_fma_f64 v[0:1], v[186:187], 2.0, -v[193:194]
	;; [unrolled: 1-line block ×4, first 2 shown]
	v_add_f64 v[156:157], v[10:11], -v[16:17]
	v_add_f64 v[0:1], v[14:15], -v[0:1]
	;; [unrolled: 1-line block ×3, first 2 shown]
	ds_write_b128 v255, v[0:3] offset:7072
	ds_write_b128 v255, v[152:155]
	v_fma_f64 v[160:161], v[14:15], 2.0, -v[0:1]
	v_add_f64 v[14:15], v[184:185], -v[174:175]
	v_fma_f64 v[162:163], v[190:191], 2.0, -v[2:3]
	v_fma_f64 v[0:1], v[148:149], 2.0, -v[10:11]
	;; [unrolled: 1-line block ×6, first 2 shown]
	v_add_f64 v[158:159], v[12:13], v[14:15]
	v_add_f64 v[154:155], v[2:3], -v[148:149]
	v_add_f64 v[152:153], v[0:1], -v[18:19]
	v_fma_f64 v[12:13], v[12:13], 2.0, -v[158:159]
	buffer_store_dword v10, off, s[48:51], 0 ; 4-byte Folded Spill
	buffer_store_dword v11, off, s[48:51], 0 offset:4 ; 4-byte Folded Spill
	buffer_store_dword v12, off, s[48:51], 0 offset:8 ; 4-byte Folded Spill
	;; [unrolled: 1-line block ×3, first 2 shown]
	ds_write_b128 v255, v[4:7] offset:832
	ds_write_b128 v255, v[160:163] offset:1664
	s_and_saveexec_b32 s0, vcc_lo
	s_cbranch_execz .LBB0_5
; %bb.4:
	s_clause 0x3
	buffer_load_dword v4, off, s[48:51], 0
	buffer_load_dword v5, off, s[48:51], 0 offset:4
	buffer_load_dword v6, off, s[48:51], 0 offset:8
	;; [unrolled: 1-line block ×3, first 2 shown]
	v_fma_f64 v[2:3], v[2:3], 2.0, -v[154:155]
	v_fma_f64 v[0:1], v[0:1], 2.0, -v[152:153]
	s_waitcnt vmcnt(0)
	ds_write_b128 v255, v[4:7] offset:5200
	ds_write_b128 v255, v[152:155] offset:7904
	;; [unrolled: 1-line block ×4, first 2 shown]
.LBB0_5:
	s_or_b32 exec_lo, exec_lo, s0
	v_add_co_u32 v0, s0, 0x2800, v8
	v_add_co_ci_u32_e64 v1, s0, 0, v9, s0
	s_waitcnt lgkmcnt(0)
	s_waitcnt_vscnt null, 0x0
	s_barrier
	buffer_gl0_inv
	global_load_dwordx4 v[0:3], v[0:1], off offset:576
	ds_read_b128 v[4:7], v255
	ds_read_b128 v[160:163], v255 offset:832
	v_add_co_u32 v10, s0, 0x3000, v8
	v_add_co_ci_u32_e64 v11, s0, 0, v9, s0
	s_mov_b32 s20, 0x42a4c3d2
	s_mov_b32 s21, 0xbfea55e2
	;; [unrolled: 1-line block ×3, first 2 shown]
	global_load_dwordx4 v[164:167], v[10:11], off offset:1024
	s_mov_b32 s30, 0x66966769
	s_mov_b32 s6, 0x2ef20147
	;; [unrolled: 1-line block ×30, first 2 shown]
	s_waitcnt vmcnt(1) lgkmcnt(1)
	v_mul_f64 v[12:13], v[6:7], v[2:3]
	v_mul_f64 v[14:15], v[4:5], v[2:3]
	v_fma_f64 v[2:3], v[4:5], v[0:1], -v[12:13]
	v_fma_f64 v[4:5], v[6:7], v[0:1], v[14:15]
	v_add_co_u32 v0, s0, 0x2a40, v8
	v_add_co_ci_u32_e64 v1, s0, 0, v9, s0
	s_clause 0x1
	global_load_dwordx4 v[168:171], v[0:1], off offset:832
	global_load_dwordx4 v[172:175], v[0:1], off offset:1664
	s_waitcnt vmcnt(1) lgkmcnt(0)
	v_mul_f64 v[0:1], v[162:163], v[170:171]
	v_mul_f64 v[6:7], v[160:161], v[170:171]
	v_fma_f64 v[160:161], v[160:161], v[168:169], -v[0:1]
	v_fma_f64 v[162:163], v[162:163], v[168:169], v[6:7]
	ds_read_b128 v[168:171], v255 offset:1664
	ds_read_b128 v[176:179], v255 offset:2496
	s_waitcnt vmcnt(0) lgkmcnt(1)
	v_mul_f64 v[0:1], v[170:171], v[174:175]
	v_mul_f64 v[6:7], v[168:169], v[174:175]
	v_fma_f64 v[168:169], v[168:169], v[172:173], -v[0:1]
	v_fma_f64 v[170:171], v[170:171], v[172:173], v[6:7]
	s_waitcnt lgkmcnt(0)
	v_mul_f64 v[0:1], v[178:179], v[166:167]
	v_mul_f64 v[6:7], v[176:177], v[166:167]
	v_fma_f64 v[172:173], v[176:177], v[164:165], -v[0:1]
	v_fma_f64 v[174:175], v[178:179], v[164:165], v[6:7]
	global_load_dwordx4 v[164:167], v[10:11], off offset:1856
	v_add_co_u32 v0, s0, 0x3800, v8
	v_add_co_ci_u32_e64 v1, s0, 0, v9, s0
	global_load_dwordx4 v[176:179], v[0:1], off offset:640
	ds_read_b128 v[180:183], v255 offset:3328
	ds_read_b128 v[184:187], v255 offset:4160
	s_waitcnt vmcnt(1) lgkmcnt(1)
	v_mul_f64 v[6:7], v[182:183], v[166:167]
	v_mul_f64 v[10:11], v[180:181], v[166:167]
	v_fma_f64 v[180:181], v[180:181], v[164:165], -v[6:7]
	s_waitcnt vmcnt(0) lgkmcnt(0)
	v_mul_f64 v[6:7], v[186:187], v[178:179]
	v_fma_f64 v[182:183], v[182:183], v[164:165], v[10:11]
	v_mul_f64 v[10:11], v[184:185], v[178:179]
	v_fma_f64 v[164:165], v[184:185], v[176:177], -v[6:7]
	v_add_co_u32 v6, s0, 0x4000, v8
	v_add_co_ci_u32_e64 v7, s0, 0, v9, s0
	v_fma_f64 v[166:167], v[186:187], v[176:177], v[10:11]
	s_clause 0x1
	global_load_dwordx4 v[176:179], v[0:1], off offset:1472
	global_load_dwordx4 v[184:187], v[6:7], off offset:256
	ds_read_b128 v[188:191], v255 offset:4992
	ds_read_b128 v[193:196], v255 offset:5824
	s_waitcnt vmcnt(1) lgkmcnt(1)
	v_mul_f64 v[0:1], v[190:191], v[178:179]
	v_mul_f64 v[10:11], v[188:189], v[178:179]
	v_fma_f64 v[188:189], v[188:189], v[176:177], -v[0:1]
	v_fma_f64 v[190:191], v[190:191], v[176:177], v[10:11]
	s_waitcnt vmcnt(0) lgkmcnt(0)
	v_mul_f64 v[0:1], v[195:196], v[186:187]
	v_mul_f64 v[10:11], v[193:194], v[186:187]
	v_fma_f64 v[176:177], v[193:194], v[184:185], -v[0:1]
	v_fma_f64 v[178:179], v[195:196], v[184:185], v[10:11]
	s_clause 0x1
	global_load_dwordx4 v[184:187], v[6:7], off offset:1088
	global_load_dwordx4 v[193:196], v[6:7], off offset:1920
	ds_read_b128 v[197:200], v255 offset:6656
	ds_read_b128 v[201:204], v255 offset:7488
	s_waitcnt vmcnt(1) lgkmcnt(1)
	v_mul_f64 v[0:1], v[199:200], v[186:187]
	v_mul_f64 v[6:7], v[197:198], v[186:187]
	v_fma_f64 v[197:198], v[197:198], v[184:185], -v[0:1]
	s_waitcnt vmcnt(0) lgkmcnt(0)
	v_mul_f64 v[0:1], v[203:204], v[195:196]
	v_fma_f64 v[199:200], v[199:200], v[184:185], v[6:7]
	v_mul_f64 v[6:7], v[201:202], v[195:196]
	v_fma_f64 v[184:185], v[201:202], v[193:194], -v[0:1]
	v_add_co_u32 v0, s0, 0x4800, v8
	v_add_co_ci_u32_e64 v1, s0, 0, v9, s0
	v_fma_f64 v[186:187], v[203:204], v[193:194], v[6:7]
	s_clause 0x1
	global_load_dwordx4 v[193:196], v[0:1], off offset:704
	global_load_dwordx4 v[201:204], v[0:1], off offset:1536
	ds_read_b128 v[205:208], v255 offset:8320
	ds_read_b128 v[209:212], v255 offset:9152
	s_waitcnt vmcnt(1) lgkmcnt(1)
	v_mul_f64 v[0:1], v[207:208], v[195:196]
	v_mul_f64 v[6:7], v[205:206], v[195:196]
	v_fma_f64 v[205:206], v[205:206], v[193:194], -v[0:1]
	s_waitcnt vmcnt(0) lgkmcnt(0)
	v_mul_f64 v[0:1], v[211:212], v[203:204]
	v_fma_f64 v[207:208], v[207:208], v[193:194], v[6:7]
	v_mul_f64 v[6:7], v[209:210], v[203:204]
	v_fma_f64 v[193:194], v[209:210], v[201:202], -v[0:1]
	v_add_co_u32 v0, s0, 0x5000, v8
	v_add_co_ci_u32_e64 v1, s0, 0, v9, s0
	v_fma_f64 v[195:196], v[211:212], v[201:202], v[6:7]
	ds_read_b128 v[201:204], v255 offset:9984
	s_mov_b32 s0, 0x24c2f84
	global_load_dwordx4 v[6:9], v[0:1], off offset:320
	s_mov_b32 s1, 0xbfe5384d
	s_mov_b32 s40, s0
	s_waitcnt vmcnt(0) lgkmcnt(0)
	v_mul_f64 v[0:1], v[203:204], v[8:9]
	v_mul_f64 v[10:11], v[201:202], v[8:9]
	v_fma_f64 v[8:9], v[201:202], v[6:7], -v[0:1]
	v_fma_f64 v[10:11], v[203:204], v[6:7], v[10:11]
	ds_write_b128 v255, v[2:5]
	ds_write_b128 v255, v[160:163] offset:832
	ds_write_b128 v255, v[168:171] offset:1664
	;; [unrolled: 1-line block ×12, first 2 shown]
	s_waitcnt lgkmcnt(0)
	s_barrier
	buffer_gl0_inv
	ds_read_b128 v[160:163], v255
	ds_read_b128 v[164:167], v255 offset:832
	ds_read_b128 v[168:171], v255 offset:1664
	;; [unrolled: 1-line block ×7, first 2 shown]
	s_waitcnt lgkmcnt(6)
	v_add_f64 v[0:1], v[160:161], v[164:165]
	v_add_f64 v[2:3], v[162:163], v[166:167]
	s_waitcnt lgkmcnt(0)
	v_add_f64 v[209:210], v[186:187], v[190:191]
	v_add_f64 v[211:212], v[186:187], -v[190:191]
	v_add_f64 v[197:198], v[184:185], v[188:189]
	v_add_f64 v[0:1], v[0:1], v[168:169]
	;; [unrolled: 1-line block ×3, first 2 shown]
	v_mul_f64 v[40:41], v[211:212], s[34:35]
	v_add_f64 v[0:1], v[0:1], v[172:173]
	v_add_f64 v[2:3], v[2:3], v[174:175]
	v_fma_f64 v[42:43], v[197:198], s[28:29], v[40:41]
	v_add_f64 v[0:1], v[0:1], v[176:177]
	v_add_f64 v[2:3], v[2:3], v[178:179]
	;; [unrolled: 1-line block ×6, first 2 shown]
	ds_read_b128 v[0:3], v255 offset:6656
	ds_read_b128 v[8:11], v255 offset:7488
	v_add_f64 v[184:185], v[184:185], -v[188:189]
	s_waitcnt lgkmcnt(1)
	v_add_f64 v[186:187], v[180:181], v[0:1]
	v_add_f64 v[12:13], v[193:194], v[188:189]
	;; [unrolled: 1-line block ×4, first 2 shown]
	v_add_f64 v[180:181], v[180:181], -v[0:1]
	v_add_f64 v[6:7], v[182:183], -v[2:3]
	s_waitcnt lgkmcnt(0)
	v_add_f64 v[182:183], v[176:177], v[8:9]
	v_add_f64 v[213:214], v[178:179], v[10:11]
	v_add_f64 v[176:177], v[176:177], -v[8:9]
	v_add_f64 v[215:216], v[178:179], -v[10:11]
	v_add_f64 v[0:1], v[12:13], v[0:1]
	v_add_f64 v[2:3], v[14:15], v[2:3]
	v_mul_f64 v[36:37], v[6:7], s[26:27]
	v_add_f64 v[12:13], v[0:1], v[8:9]
	v_add_f64 v[14:15], v[2:3], v[10:11]
	ds_read_b128 v[0:3], v255 offset:8320
	ds_read_b128 v[8:11], v255 offset:9152
	v_fma_f64 v[38:39], v[186:187], s[12:13], v[36:37]
	s_waitcnt lgkmcnt(1)
	v_add_f64 v[178:179], v[172:173], v[0:1]
	v_add_f64 v[217:218], v[174:175], v[2:3]
	v_add_f64 v[172:173], v[172:173], -v[0:1]
	v_add_f64 v[219:220], v[174:175], -v[2:3]
	v_add_f64 v[0:1], v[12:13], v[0:1]
	v_add_f64 v[2:3], v[14:15], v[2:3]
	s_waitcnt lgkmcnt(0)
	v_add_f64 v[174:175], v[168:169], v[8:9]
	v_add_f64 v[221:222], v[170:171], v[10:11]
	v_add_f64 v[188:189], v[168:169], -v[8:9]
	v_add_f64 v[223:224], v[170:171], -v[10:11]
	v_add_f64 v[8:9], v[0:1], v[8:9]
	v_add_f64 v[10:11], v[2:3], v[10:11]
	ds_read_b128 v[0:3], v255 offset:9984
	s_waitcnt lgkmcnt(0)
	s_barrier
	buffer_gl0_inv
	v_add_f64 v[12:13], v[166:167], -v[2:3]
	v_add_f64 v[14:15], v[164:165], v[0:1]
	v_add_f64 v[16:17], v[166:167], v[2:3]
	;; [unrolled: 1-line block ×3, first 2 shown]
	v_add_f64 v[18:19], v[164:165], -v[0:1]
	v_add_f64 v[164:165], v[8:9], v[0:1]
	v_mul_f64 v[2:3], v[12:13], s[20:21]
	v_mul_f64 v[0:1], v[12:13], s[42:43]
	;; [unrolled: 1-line block ×9, first 2 shown]
	v_fma_f64 v[190:191], v[14:15], s[14:15], v[2:3]
	v_fma_f64 v[193:194], v[14:15], s[14:15], -v[2:3]
	v_mul_f64 v[2:3], v[16:17], s[28:29]
	v_fma_f64 v[170:171], v[14:15], s[28:29], v[0:1]
	v_fma_f64 v[0:1], v[14:15], s[28:29], -v[0:1]
	v_fma_f64 v[195:196], v[14:15], s[12:13], v[8:9]
	v_fma_f64 v[8:9], v[14:15], s[12:13], -v[8:9]
	;; [unrolled: 2-line block ×5, first 2 shown]
	v_mul_f64 v[14:15], v[16:17], s[14:15]
	v_mul_f64 v[16:17], v[16:17], s[18:19]
	v_fma_f64 v[231:232], v[18:19], s[26:27], v[205:206]
	v_fma_f64 v[205:206], v[18:19], s[30:31], v[205:206]
	;; [unrolled: 1-line block ×6, first 2 shown]
	v_add_f64 v[240:241], v[160:161], v[190:191]
	v_mul_f64 v[190:191], v[223:224], s[20:21]
	v_fma_f64 v[227:228], v[18:19], s[34:35], v[2:3]
	v_fma_f64 v[2:3], v[18:19], s[42:43], v[2:3]
	v_add_f64 v[244:245], v[160:161], v[193:194]
	v_add_f64 v[246:247], v[160:161], v[195:196]
	v_mul_f64 v[193:194], v[221:222], s[14:15]
	v_mul_f64 v[195:196], v[219:220], s[30:31]
	v_add_f64 v[20:21], v[160:161], v[199:200]
	v_mul_f64 v[199:200], v[217:218], s[12:13]
	v_add_f64 v[28:29], v[160:161], v[201:202]
	;; [unrolled: 2-line block ×3, first 2 shown]
	v_fma_f64 v[229:230], v[18:19], s[24:25], v[14:15]
	v_fma_f64 v[14:15], v[18:19], s[20:21], v[14:15]
	;; [unrolled: 1-line block ×4, first 2 shown]
	v_add_f64 v[18:19], v[160:161], v[170:171]
	v_add_f64 v[10:11], v[160:161], v[203:204]
	v_mul_f64 v[203:204], v[213:214], s[16:17]
	v_add_f64 v[34:35], v[162:163], v[225:226]
	v_add_f64 v[252:253], v[162:163], v[205:206]
	v_mul_f64 v[205:206], v[6:7], s[0:1]
	v_add_f64 v[26:27], v[162:163], v[207:208]
	v_add_f64 v[170:171], v[162:163], v[227:228]
	;; [unrolled: 1-line block ×3, first 2 shown]
	v_fma_f64 v[12:13], v[174:175], s[14:15], v[190:191]
	v_mul_f64 v[207:208], v[4:5], s[22:23]
	v_add_f64 v[248:249], v[162:163], v[231:232]
	v_mul_f64 v[231:232], v[209:210], s[18:19]
	v_add_f64 v[0:1], v[160:161], v[0:1]
	v_add_f64 v[250:251], v[160:161], v[8:9]
	;; [unrolled: 1-line block ×6, first 2 shown]
	v_mul_f64 v[229:230], v[211:212], s[2:3]
	v_add_f64 v[14:15], v[162:163], v[14:15]
	v_add_f64 v[225:226], v[162:163], v[16:17]
	v_fma_f64 v[16:17], v[188:189], s[24:25], v[193:194]
	v_add_f64 v[30:31], v[162:163], v[235:236]
	v_add_f64 v[8:9], v[162:163], v[238:239]
	v_mul_f64 v[238:239], v[217:218], s[18:19]
	v_add_f64 v[12:13], v[12:13], v[18:19]
	v_fma_f64 v[18:19], v[178:179], s[12:13], v[195:196]
	v_add_f64 v[16:17], v[16:17], v[170:171]
	v_mul_f64 v[170:171], v[219:220], s[2:3]
	v_add_f64 v[12:13], v[18:19], v[12:13]
	v_fma_f64 v[18:19], v[172:173], s[26:27], v[199:200]
	v_fma_f64 v[233:234], v[178:179], s[18:19], v[170:171]
	v_add_f64 v[16:17], v[18:19], v[16:17]
	v_fma_f64 v[18:19], v[182:183], s[16:17], v[201:202]
	v_add_f64 v[12:13], v[18:19], v[12:13]
	;; [unrolled: 2-line block ×6, first 2 shown]
	v_fma_f64 v[12:13], v[184:185], s[36:37], v[231:232]
	v_mul_f64 v[18:19], v[221:222], s[16:17]
	v_add_f64 v[162:163], v[12:13], v[16:17]
	v_mul_f64 v[12:13], v[223:224], s[6:7]
	v_fma_f64 v[168:169], v[188:189], s[38:39], v[18:19]
	v_fma_f64 v[18:19], v[188:189], s[6:7], v[18:19]
	;; [unrolled: 1-line block ×3, first 2 shown]
	v_fma_f64 v[12:13], v[174:175], s[16:17], -v[12:13]
	v_add_f64 v[168:169], v[168:169], v[242:243]
	v_add_f64 v[14:15], v[18:19], v[14:15]
	v_fma_f64 v[18:19], v[178:179], s[18:19], -v[170:171]
	v_mul_f64 v[242:243], v[213:214], s[22:23]
	v_add_f64 v[16:17], v[16:17], v[240:241]
	v_mul_f64 v[240:241], v[215:216], s[40:41]
	v_add_f64 v[12:13], v[12:13], v[244:245]
	;; [unrolled: 2-line block ×3, first 2 shown]
	v_fma_f64 v[233:234], v[172:173], s[36:37], v[238:239]
	v_add_f64 v[12:13], v[18:19], v[12:13]
	v_fma_f64 v[18:19], v[172:173], s[2:3], v[238:239]
	v_add_f64 v[168:169], v[233:234], v[168:169]
	;; [unrolled: 2-line block ×3, first 2 shown]
	v_fma_f64 v[18:19], v[182:183], s[22:23], -v[240:241]
	v_add_f64 v[16:17], v[233:234], v[16:17]
	v_fma_f64 v[233:234], v[176:177], s[0:1], v[242:243]
	v_add_f64 v[12:13], v[18:19], v[12:13]
	v_fma_f64 v[18:19], v[176:177], s[40:41], v[242:243]
	v_mul_f64 v[242:243], v[6:7], s[20:21]
	v_add_f64 v[16:17], v[38:39], v[16:17]
	v_mul_f64 v[38:39], v[4:5], s[12:13]
	v_add_f64 v[168:169], v[233:234], v[168:169]
	v_add_f64 v[14:15], v[18:19], v[14:15]
	v_fma_f64 v[18:19], v[186:187], s[12:13], -v[36:37]
	v_mul_f64 v[36:37], v[219:220], s[38:39]
	v_fma_f64 v[233:234], v[180:181], s[30:31], v[38:39]
	v_add_f64 v[12:13], v[18:19], v[12:13]
	v_fma_f64 v[18:19], v[180:181], s[26:27], v[38:39]
	v_fma_f64 v[38:39], v[178:179], s[16:17], v[36:37]
	v_add_f64 v[168:169], v[233:234], v[168:169]
	v_add_f64 v[233:234], v[42:43], v[16:17]
	v_mul_f64 v[16:17], v[209:210], s[28:29]
	v_add_f64 v[14:15], v[18:19], v[14:15]
	v_fma_f64 v[18:19], v[197:198], s[28:29], -v[40:41]
	v_fma_f64 v[42:43], v[184:185], s[42:43], v[16:17]
	v_fma_f64 v[16:17], v[184:185], s[34:35], v[16:17]
	v_add_f64 v[235:236], v[42:43], v[168:169]
	v_add_f64 v[168:169], v[18:19], v[12:13]
	v_mul_f64 v[12:13], v[223:224], s[2:3]
	v_add_f64 v[170:171], v[16:17], v[14:15]
	v_mul_f64 v[16:17], v[221:222], s[18:19]
	v_fma_f64 v[14:15], v[174:175], s[18:19], v[12:13]
	v_fma_f64 v[12:13], v[174:175], s[18:19], -v[12:13]
	v_fma_f64 v[18:19], v[188:189], s[36:37], v[16:17]
	v_fma_f64 v[16:17], v[188:189], s[2:3], v[16:17]
	v_add_f64 v[14:15], v[14:15], v[246:247]
	v_mul_f64 v[246:247], v[211:212], s[0:1]
	v_add_f64 v[18:19], v[18:19], v[248:249]
	v_add_f64 v[12:13], v[12:13], v[250:251]
	;; [unrolled: 1-line block ×3, first 2 shown]
	v_mul_f64 v[250:251], v[211:212], s[24:25]
	v_add_f64 v[14:15], v[38:39], v[14:15]
	v_mul_f64 v[38:39], v[217:218], s[16:17]
	v_fma_f64 v[40:41], v[172:173], s[6:7], v[38:39]
	v_add_f64 v[18:19], v[40:41], v[18:19]
	v_mul_f64 v[40:41], v[215:216], s[34:35]
	v_fma_f64 v[42:43], v[182:183], s[28:29], v[40:41]
	;; [unrolled: 3-line block ×3, first 2 shown]
	v_add_f64 v[18:19], v[238:239], v[18:19]
	v_fma_f64 v[238:239], v[186:187], s[14:15], v[242:243]
	v_add_f64 v[14:15], v[238:239], v[14:15]
	v_fma_f64 v[238:239], v[180:181], s[24:25], v[244:245]
	;; [unrolled: 2-line block ×3, first 2 shown]
	v_add_f64 v[238:239], v[238:239], v[14:15]
	v_mul_f64 v[14:15], v[209:210], s[22:23]
	v_fma_f64 v[240:241], v[184:185], s[40:41], v[14:15]
	v_fma_f64 v[14:15], v[184:185], s[0:1], v[14:15]
	v_add_f64 v[240:241], v[240:241], v[18:19]
	v_fma_f64 v[18:19], v[178:179], s[16:17], -v[36:37]
	v_add_f64 v[12:13], v[18:19], v[12:13]
	v_fma_f64 v[18:19], v[172:173], s[38:39], v[38:39]
	v_add_f64 v[16:17], v[18:19], v[16:17]
	v_fma_f64 v[18:19], v[182:183], s[28:29], -v[40:41]
	v_add_f64 v[12:13], v[18:19], v[12:13]
	v_fma_f64 v[18:19], v[176:177], s[34:35], v[42:43]
	v_add_f64 v[16:17], v[18:19], v[16:17]
	v_fma_f64 v[18:19], v[186:187], s[14:15], -v[242:243]
	v_add_f64 v[12:13], v[18:19], v[12:13]
	v_fma_f64 v[18:19], v[180:181], s[20:21], v[244:245]
	v_add_f64 v[16:17], v[18:19], v[16:17]
	v_fma_f64 v[18:19], v[197:198], s[22:23], -v[246:247]
	v_add_f64 v[244:245], v[14:15], v[16:17]
	v_add_f64 v[242:243], v[18:19], v[12:13]
	v_mul_f64 v[12:13], v[223:224], s[40:41]
	v_mul_f64 v[16:17], v[221:222], s[22:23]
	v_fma_f64 v[14:15], v[174:175], s[22:23], v[12:13]
	v_fma_f64 v[18:19], v[188:189], s[0:1], v[16:17]
	v_fma_f64 v[12:13], v[174:175], s[22:23], -v[12:13]
	v_fma_f64 v[16:17], v[188:189], s[40:41], v[16:17]
	v_add_f64 v[14:15], v[14:15], v[20:21]
	v_mul_f64 v[20:21], v[219:220], s[34:35]
	v_add_f64 v[18:19], v[18:19], v[22:23]
	v_add_f64 v[12:13], v[12:13], v[24:25]
	;; [unrolled: 1-line block ×3, first 2 shown]
	v_fma_f64 v[22:23], v[178:179], s[28:29], v[20:21]
	v_add_f64 v[14:15], v[22:23], v[14:15]
	v_mul_f64 v[22:23], v[217:218], s[28:29]
	v_fma_f64 v[36:37], v[172:173], s[42:43], v[22:23]
	v_add_f64 v[18:19], v[36:37], v[18:19]
	v_mul_f64 v[36:37], v[215:216], s[30:31]
	v_fma_f64 v[38:39], v[182:183], s[12:13], v[36:37]
	v_add_f64 v[14:15], v[38:39], v[14:15]
	v_mul_f64 v[38:39], v[213:214], s[12:13]
	v_fma_f64 v[40:41], v[176:177], s[26:27], v[38:39]
	v_add_f64 v[18:19], v[40:41], v[18:19]
	v_mul_f64 v[40:41], v[6:7], s[36:37]
	v_fma_f64 v[42:43], v[186:187], s[18:19], v[40:41]
	v_add_f64 v[14:15], v[42:43], v[14:15]
	v_mul_f64 v[42:43], v[4:5], s[18:19]
	v_fma_f64 v[246:247], v[180:181], s[2:3], v[42:43]
	v_add_f64 v[18:19], v[246:247], v[18:19]
	v_fma_f64 v[246:247], v[197:198], s[14:15], v[250:251]
	v_add_f64 v[246:247], v[246:247], v[14:15]
	v_mul_f64 v[14:15], v[209:210], s[14:15]
	v_fma_f64 v[248:249], v[184:185], s[20:21], v[14:15]
	v_fma_f64 v[14:15], v[184:185], s[24:25], v[14:15]
	v_add_f64 v[248:249], v[248:249], v[18:19]
	v_fma_f64 v[18:19], v[178:179], s[28:29], -v[20:21]
	v_mul_f64 v[20:21], v[219:220], s[20:21]
	v_add_f64 v[12:13], v[18:19], v[12:13]
	v_fma_f64 v[18:19], v[172:173], s[34:35], v[22:23]
	v_fma_f64 v[22:23], v[178:179], s[14:15], v[20:21]
	v_fma_f64 v[20:21], v[178:179], s[14:15], -v[20:21]
	v_add_f64 v[16:17], v[18:19], v[16:17]
	v_fma_f64 v[18:19], v[182:183], s[12:13], -v[36:37]
	v_add_f64 v[12:13], v[18:19], v[12:13]
	v_fma_f64 v[18:19], v[176:177], s[30:31], v[38:39]
	v_add_f64 v[16:17], v[18:19], v[16:17]
	v_fma_f64 v[18:19], v[186:187], s[18:19], -v[40:41]
	v_add_f64 v[12:13], v[18:19], v[12:13]
	v_fma_f64 v[18:19], v[180:181], s[36:37], v[42:43]
	v_add_f64 v[16:17], v[18:19], v[16:17]
	v_fma_f64 v[18:19], v[197:198], s[14:15], -v[250:251]
	v_add_f64 v[252:253], v[14:15], v[16:17]
	v_mul_f64 v[16:17], v[223:224], s[26:27]
	v_add_f64 v[250:251], v[18:19], v[12:13]
	v_mul_f64 v[18:19], v[221:222], s[12:13]
	v_fma_f64 v[12:13], v[174:175], s[12:13], v[16:17]
	v_fma_f64 v[16:17], v[174:175], s[12:13], -v[16:17]
	v_fma_f64 v[14:15], v[188:189], s[30:31], v[18:19]
	v_fma_f64 v[18:19], v[188:189], s[26:27], v[18:19]
	v_add_f64 v[12:13], v[12:13], v[28:29]
	v_add_f64 v[16:17], v[16:17], v[32:33]
	v_add_f64 v[14:15], v[14:15], v[30:31]
	v_add_f64 v[18:19], v[18:19], v[34:35]
	v_mul_f64 v[34:35], v[211:212], s[26:27]
	v_add_f64 v[12:13], v[22:23], v[12:13]
	v_mul_f64 v[22:23], v[217:218], s[14:15]
	v_add_f64 v[16:17], v[20:21], v[16:17]
	v_fma_f64 v[24:25], v[172:173], s[24:25], v[22:23]
	v_fma_f64 v[20:21], v[172:173], s[20:21], v[22:23]
	v_add_f64 v[14:15], v[24:25], v[14:15]
	v_mul_f64 v[24:25], v[215:216], s[36:37]
	v_add_f64 v[18:19], v[20:21], v[18:19]
	v_fma_f64 v[26:27], v[182:183], s[18:19], v[24:25]
	v_fma_f64 v[20:21], v[182:183], s[18:19], -v[24:25]
	v_add_f64 v[12:13], v[26:27], v[12:13]
	v_mul_f64 v[26:27], v[213:214], s[18:19]
	v_add_f64 v[16:17], v[20:21], v[16:17]
	v_fma_f64 v[28:29], v[176:177], s[2:3], v[26:27]
	v_fma_f64 v[20:21], v[176:177], s[36:37], v[26:27]
	v_add_f64 v[14:15], v[28:29], v[14:15]
	v_mul_f64 v[28:29], v[6:7], s[34:35]
	v_add_f64 v[18:19], v[20:21], v[18:19]
	v_fma_f64 v[30:31], v[186:187], s[28:29], v[28:29]
	v_fma_f64 v[20:21], v[186:187], s[28:29], -v[28:29]
	;; [unrolled: 10-line block ×3, first 2 shown]
	v_mul_f64 v[36:37], v[209:210], s[12:13]
	v_add_f64 v[12:13], v[38:39], v[12:13]
	v_mul_f64 v[38:39], v[209:210], s[16:17]
	v_add_f64 v[16:17], v[20:21], v[16:17]
	v_mul_f64 v[20:21], v[223:224], s[34:35]
	v_fma_f64 v[22:23], v[184:185], s[6:7], v[38:39]
	v_fma_f64 v[40:41], v[184:185], s[38:39], v[38:39]
	v_add_f64 v[18:19], v[22:23], v[18:19]
	v_fma_f64 v[22:23], v[174:175], s[28:29], v[20:21]
	v_add_f64 v[14:15], v[40:41], v[14:15]
	v_add_f64 v[10:11], v[22:23], v[10:11]
	v_mul_f64 v[22:23], v[221:222], s[28:29]
	v_fma_f64 v[24:25], v[188:189], s[42:43], v[22:23]
	v_add_f64 v[8:9], v[24:25], v[8:9]
	v_mul_f64 v[24:25], v[219:220], s[0:1]
	v_fma_f64 v[26:27], v[178:179], s[22:23], v[24:25]
	;; [unrolled: 3-line block ×7, first 2 shown]
	v_fma_f64 v[10:11], v[180:181], s[6:7], v[10:11]
	v_add_f64 v[8:9], v[4:5], v[8:9]
	v_fma_f64 v[4:5], v[197:198], s[12:13], v[34:35]
	v_add_f64 v[4:5], v[4:5], v[6:7]
	;; [unrolled: 2-line block ×3, first 2 shown]
	v_fma_f64 v[8:9], v[174:175], s[28:29], -v[20:21]
	v_fma_f64 v[20:21], v[188:189], s[34:35], v[22:23]
	v_fma_f64 v[22:23], v[178:179], s[22:23], -v[24:25]
	v_fma_f64 v[24:25], v[178:179], s[12:13], -v[195:196]
	v_add_f64 v[8:9], v[8:9], v[227:228]
	v_add_f64 v[20:21], v[20:21], v[225:226]
	;; [unrolled: 1-line block ×3, first 2 shown]
	v_fma_f64 v[22:23], v[172:173], s[0:1], v[26:27]
	v_fma_f64 v[26:27], v[172:173], s[30:31], v[199:200]
	v_add_f64 v[20:21], v[22:23], v[20:21]
	v_fma_f64 v[22:23], v[182:183], s[14:15], -v[28:29]
	v_add_f64 v[8:9], v[22:23], v[8:9]
	v_fma_f64 v[22:23], v[176:177], s[24:25], v[30:31]
	v_add_f64 v[20:21], v[22:23], v[20:21]
	v_fma_f64 v[22:23], v[186:187], s[16:17], -v[32:33]
	v_add_f64 v[10:11], v[10:11], v[20:21]
	v_add_f64 v[8:9], v[22:23], v[8:9]
	v_fma_f64 v[20:21], v[197:198], s[12:13], -v[34:35]
	v_fma_f64 v[22:23], v[184:185], s[26:27], v[36:37]
	v_add_f64 v[8:9], v[20:21], v[8:9]
	v_add_f64 v[10:11], v[22:23], v[10:11]
	v_fma_f64 v[20:21], v[174:175], s[14:15], -v[190:191]
	v_fma_f64 v[22:23], v[188:189], s[20:21], v[193:194]
	v_add_f64 v[0:1], v[20:21], v[0:1]
	v_add_f64 v[2:3], v[22:23], v[2:3]
	v_fma_f64 v[20:21], v[182:183], s[16:17], -v[201:202]
	v_fma_f64 v[22:23], v[176:177], s[6:7], v[203:204]
	v_add_f64 v[0:1], v[24:25], v[0:1]
	v_add_f64 v[2:3], v[26:27], v[2:3]
	v_fma_f64 v[24:25], v[186:187], s[22:23], -v[205:206]
	v_fma_f64 v[26:27], v[180:181], s[0:1], v[207:208]
	v_add_f64 v[0:1], v[20:21], v[0:1]
	v_add_f64 v[2:3], v[22:23], v[2:3]
	v_fma_f64 v[20:21], v[197:198], s[18:19], -v[229:230]
	v_fma_f64 v[22:23], v[184:185], s[2:3], v[231:232]
	v_add_f64 v[0:1], v[24:25], v[0:1]
	v_add_f64 v[2:3], v[26:27], v[2:3]
	;; [unrolled: 1-line block ×4, first 2 shown]
	ds_write_b128 v237, v[160:163] offset:16
	ds_write_b128 v237, v[233:236] offset:32
	;; [unrolled: 1-line block ×12, first 2 shown]
	ds_write_b128 v237, v[164:167]
	s_waitcnt lgkmcnt(0)
	s_barrier
	buffer_gl0_inv
	ds_read_b128 v[0:3], v255 offset:832
	ds_read_b128 v[4:7], v255
	ds_read_b128 v[8:11], v255 offset:1664
	ds_read_b128 v[12:15], v255 offset:2496
	s_waitcnt lgkmcnt(3)
	v_mul_f64 v[16:17], v[54:55], v[2:3]
	v_mul_f64 v[18:19], v[54:55], v[0:1]
	s_waitcnt lgkmcnt(1)
	v_mul_f64 v[20:21], v[58:59], v[10:11]
	v_mul_f64 v[22:23], v[58:59], v[8:9]
	v_fma_f64 v[24:25], v[52:53], v[0:1], v[16:17]
	v_fma_f64 v[26:27], v[52:53], v[2:3], -v[18:19]
	ds_read_b128 v[0:3], v255 offset:3328
	s_waitcnt lgkmcnt(1)
	v_mul_f64 v[16:17], v[62:63], v[14:15]
	v_mul_f64 v[18:19], v[62:63], v[12:13]
	v_fma_f64 v[160:161], v[56:57], v[8:9], v[20:21]
	v_fma_f64 v[162:163], v[56:57], v[10:11], -v[22:23]
	ds_read_b128 v[8:11], v255 offset:4160
	s_waitcnt lgkmcnt(1)
	v_mul_f64 v[20:21], v[66:67], v[2:3]
	v_mul_f64 v[22:23], v[66:67], v[0:1]
	v_add_f64 v[201:202], v[4:5], v[24:25]
	v_fma_f64 v[164:165], v[60:61], v[12:13], v[16:17]
	v_fma_f64 v[166:167], v[60:61], v[14:15], -v[18:19]
	ds_read_b128 v[12:15], v255 offset:4992
	ds_read_b128 v[16:19], v255 offset:5824
	s_waitcnt lgkmcnt(2)
	v_mul_f64 v[28:29], v[70:71], v[10:11]
	v_add_f64 v[203:204], v[6:7], v[26:27]
	v_fma_f64 v[168:169], v[64:65], v[0:1], v[20:21]
	v_fma_f64 v[170:171], v[64:65], v[2:3], -v[22:23]
	v_mul_f64 v[0:1], v[70:71], v[8:9]
	s_waitcnt lgkmcnt(1)
	v_mul_f64 v[20:21], v[74:75], v[14:15]
	v_mul_f64 v[22:23], v[74:75], v[12:13]
	s_waitcnt lgkmcnt(0)
	v_mul_f64 v[30:31], v[78:79], v[18:19]
	v_fma_f64 v[172:173], v[68:69], v[8:9], v[28:29]
	v_mul_f64 v[28:29], v[78:79], v[16:17]
	v_fma_f64 v[174:175], v[68:69], v[10:11], -v[0:1]
	ds_read_b128 v[0:3], v255 offset:6656
	v_fma_f64 v[176:177], v[72:73], v[12:13], v[20:21]
	v_fma_f64 v[178:179], v[72:73], v[14:15], -v[22:23]
	ds_read_b128 v[8:11], v255 offset:9984
	ds_read_b128 v[12:15], v255 offset:7488
	v_fma_f64 v[182:183], v[76:77], v[18:19], -v[28:29]
	v_fma_f64 v[180:181], v[76:77], v[16:17], v[30:31]
	s_waitcnt lgkmcnt(2)
	v_mul_f64 v[20:21], v[82:83], v[2:3]
	v_mul_f64 v[16:17], v[82:83], v[0:1]
	s_waitcnt lgkmcnt(1)
	v_mul_f64 v[18:19], v[98:99], v[8:9]
	v_mul_f64 v[22:23], v[98:99], v[10:11]
	v_add_f64 v[253:254], v[176:177], v[180:181]
	v_fma_f64 v[184:185], v[80:81], v[0:1], v[20:21]
	v_fma_f64 v[186:187], v[80:81], v[2:3], -v[16:17]
	v_fma_f64 v[98:99], v[96:97], v[10:11], -v[18:19]
	ds_read_b128 v[0:3], v255 offset:8320
	s_waitcnt lgkmcnt(1)
	v_mul_f64 v[16:17], v[86:87], v[14:15]
	v_mul_f64 v[18:19], v[86:87], v[12:13]
	v_fma_f64 v[96:97], v[96:97], v[8:9], v[22:23]
	ds_read_b128 v[8:11], v255 offset:9152
	v_add_f64 v[241:242], v[172:173], v[184:185]
	s_waitcnt lgkmcnt(1)
	v_mul_f64 v[20:21], v[90:91], v[2:3]
	v_add_f64 v[22:23], v[26:27], -v[98:99]
	v_mul_f64 v[28:29], v[90:91], v[0:1]
	v_fma_f64 v[188:189], v[84:85], v[12:13], v[16:17]
	v_fma_f64 v[190:191], v[84:85], v[14:15], -v[18:19]
	s_waitcnt lgkmcnt(0)
	v_mul_f64 v[12:13], v[94:95], v[10:11]
	v_mul_f64 v[14:15], v[94:95], v[8:9]
	v_add_f64 v[52:53], v[24:25], -v[96:97]
	v_add_f64 v[243:244], v[172:173], -v[184:185]
	v_fma_f64 v[94:95], v[88:89], v[0:1], v[20:21]
	v_add_f64 v[0:1], v[24:25], v[96:97]
	v_mul_f64 v[16:17], v[22:23], s[42:43]
	v_fma_f64 v[193:194], v[88:89], v[2:3], -v[28:29]
	v_mul_f64 v[2:3], v[22:23], s[20:21]
	v_mul_f64 v[18:19], v[22:23], s[30:31]
	;; [unrolled: 1-line block ×5, first 2 shown]
	v_fma_f64 v[195:196], v[92:93], v[8:9], v[12:13]
	v_fma_f64 v[92:93], v[92:93], v[10:11], -v[14:15]
	v_add_f64 v[249:250], v[170:171], -v[190:191]
	v_add_f64 v[221:222], v[168:169], v[188:189]
	v_add_f64 v[251:252], v[170:171], v[190:191]
	v_add_f64 v[223:224], v[168:169], -v[188:189]
	v_add_f64 v[205:206], v[164:165], v[94:95]
	v_add_f64 v[207:208], v[164:165], -v[94:95]
	v_fma_f64 v[8:9], v[0:1], s[28:29], v[16:17]
	v_fma_f64 v[10:11], v[0:1], s[28:29], -v[16:17]
	v_fma_f64 v[12:13], v[0:1], s[14:15], v[2:3]
	v_fma_f64 v[2:3], v[0:1], s[14:15], -v[2:3]
	;; [unrolled: 2-line block ×6, first 2 shown]
	v_add_f64 v[22:23], v[26:27], v[98:99]
	v_add_f64 v[213:214], v[162:163], -v[92:93]
	v_add_f64 v[84:85], v[160:161], v[195:196]
	v_add_f64 v[215:216], v[162:163], v[92:93]
	v_add_f64 v[233:234], v[166:167], -v[193:194]
	v_add_f64 v[86:87], v[160:161], -v[195:196]
	v_add_f64 v[235:236], v[166:167], v[193:194]
	v_mul_f64 v[225:226], v[249:250], s[6:7]
	v_mul_f64 v[227:228], v[251:252], s[16:17]
	;; [unrolled: 1-line block ×3, first 2 shown]
	v_add_f64 v[8:9], v[4:5], v[8:9]
	v_add_f64 v[10:11], v[4:5], v[10:11]
	buffer_store_dword v10, off, s[48:51], 0 offset:236 ; 4-byte Folded Spill
	buffer_store_dword v11, off, s[48:51], 0 offset:240 ; 4-byte Folded Spill
	v_mul_f64 v[34:35], v[22:23], s[28:29]
	v_mul_f64 v[38:39], v[22:23], s[12:13]
	v_add_f64 v[62:63], v[4:5], v[2:3]
	v_add_f64 v[2:3], v[4:5], v[16:17]
	v_mul_f64 v[40:41], v[22:23], s[16:17]
	v_mul_f64 v[36:37], v[22:23], s[14:15]
	;; [unrolled: 1-line block ×7, first 2 shown]
	v_add_f64 v[66:67], v[4:5], v[12:13]
	v_add_f64 v[239:240], v[4:5], v[14:15]
	;; [unrolled: 1-line block ×5, first 2 shown]
	v_mul_f64 v[211:212], v[235:236], s[12:13]
	v_mul_f64 v[16:17], v[215:216], s[16:17]
	;; [unrolled: 1-line block ×4, first 2 shown]
	v_fma_f64 v[150:151], v[221:222], s[18:19], v[148:149]
	v_fma_f64 v[54:55], v[52:53], s[34:35], v[34:35]
	;; [unrolled: 1-line block ×18, first 2 shown]
	v_add_f64 v[24:25], v[6:7], v[54:55]
	v_add_f64 v[10:11], v[6:7], v[34:35]
	buffer_store_dword v10, off, s[48:51], 0 offset:244 ; 4-byte Folded Spill
	buffer_store_dword v11, off, s[48:51], 0 offset:248 ; 4-byte Folded Spill
	;; [unrolled: 1-line block ×4, first 2 shown]
	v_add_f64 v[2:3], v[6:7], v[38:39]
	buffer_store_dword v2, off, s[48:51], 0 offset:260 ; 4-byte Folded Spill
	buffer_store_dword v3, off, s[48:51], 0 offset:264 ; 4-byte Folded Spill
	v_add_f64 v[2:3], v[4:5], v[20:21]
	buffer_store_dword v2, off, s[48:51], 0 offset:268 ; 4-byte Folded Spill
	buffer_store_dword v3, off, s[48:51], 0 offset:272 ; 4-byte Folded Spill
	;; [unrolled: 3-line block ×3, first 2 shown]
	v_add_f64 v[2:3], v[4:5], v[28:29]
	v_add_f64 v[197:198], v[6:7], v[80:81]
	v_add_f64 v[80:81], v[4:5], v[0:1]
	v_fma_f64 v[0:1], v[84:85], s[14:15], v[88:89]
	buffer_store_dword v2, off, s[48:51], 0 offset:284 ; 4-byte Folded Spill
	buffer_store_dword v3, off, s[48:51], 0 offset:288 ; 4-byte Folded Spill
	v_fma_f64 v[2:3], v[86:87], s[24:25], v[90:91]
	v_fma_f64 v[4:5], v[205:206], s[12:13], v[209:210]
	v_add_f64 v[0:1], v[0:1], v[8:9]
	v_add_f64 v[64:65], v[6:7], v[60:61]
	;; [unrolled: 1-line block ×9, first 2 shown]
	v_mul_f64 v[22:23], v[233:234], s[2:3]
	v_mul_f64 v[42:43], v[213:214], s[40:41]
	v_fma_f64 v[48:49], v[205:206], s[14:15], -v[48:49]
	v_add_f64 v[2:3], v[2:3], v[24:25]
	v_add_f64 v[0:1], v[4:5], v[0:1]
	v_fma_f64 v[4:5], v[207:208], s[26:27], v[211:212]
	v_add_f64 v[18:19], v[18:19], v[64:65]
	v_add_f64 v[16:17], v[16:17], v[60:61]
	;; [unrolled: 1-line block ×4, first 2 shown]
	v_mul_f64 v[40:41], v[20:21], s[22:23]
	v_fma_f64 v[24:25], v[205:206], s[18:19], v[22:23]
	v_add_f64 v[2:3], v[4:5], v[2:3]
	v_fma_f64 v[4:5], v[221:222], s[16:17], v[225:226]
	v_add_f64 v[4:5], v[4:5], v[0:1]
	;; [unrolled: 2-line block ×3, first 2 shown]
	v_add_f64 v[0:1], v[174:175], -v[186:187]
	v_mul_f64 v[245:246], v[0:1], s[0:1]
	v_mul_f64 v[108:109], v[0:1], s[34:35]
	v_fma_f64 v[2:3], v[241:242], s[22:23], v[245:246]
	v_fma_f64 v[110:111], v[241:242], s[28:29], v[108:109]
	v_add_f64 v[10:11], v[2:3], v[4:5]
	v_add_f64 v[2:3], v[174:175], v[186:187]
	v_mul_f64 v[247:248], v[2:3], s[22:23]
	v_fma_f64 v[4:5], v[243:244], s[40:41], v[247:248]
	v_add_f64 v[12:13], v[4:5], v[6:7]
	v_add_f64 v[4:5], v[178:179], -v[182:183]
	v_mul_f64 v[8:9], v[4:5], s[2:3]
	v_mul_f64 v[38:39], v[4:5], s[0:1]
	;; [unrolled: 1-line block ×3, first 2 shown]
	v_fma_f64 v[6:7], v[253:254], s[18:19], v[8:9]
	v_fma_f64 v[130:131], v[253:254], s[16:17], v[128:129]
	v_add_f64 v[52:53], v[6:7], v[10:11]
	v_add_f64 v[6:7], v[176:177], -v[180:181]
	v_mul_f64 v[10:11], v[20:21], s[18:19]
	v_fma_f64 v[14:15], v[6:7], s[36:37], v[10:11]
	v_add_f64 v[54:55], v[14:15], v[12:13]
	v_mul_f64 v[12:13], v[213:214], s[6:7]
	v_fma_f64 v[14:15], v[84:85], s[16:17], v[12:13]
	v_fma_f64 v[12:13], v[84:85], s[16:17], -v[12:13]
	v_add_f64 v[14:15], v[14:15], v[66:67]
	v_add_f64 v[12:13], v[12:13], v[62:63]
	;; [unrolled: 1-line block ×3, first 2 shown]
	v_mul_f64 v[24:25], v[235:236], s[18:19]
	v_fma_f64 v[26:27], v[207:208], s[36:37], v[24:25]
	v_add_f64 v[18:19], v[26:27], v[18:19]
	v_mul_f64 v[26:27], v[249:250], s[40:41]
	v_fma_f64 v[28:29], v[221:222], s[22:23], v[26:27]
	v_add_f64 v[14:15], v[28:29], v[14:15]
	;; [unrolled: 3-line block ×6, first 2 shown]
	v_mul_f64 v[14:15], v[20:21], s[28:29]
	v_fma_f64 v[36:37], v[6:7], s[42:43], v[14:15]
	v_fma_f64 v[14:15], v[6:7], s[34:35], v[14:15]
	v_add_f64 v[66:67], v[36:37], v[18:19]
	v_fma_f64 v[18:19], v[205:206], s[18:19], -v[22:23]
	v_mul_f64 v[22:23], v[213:214], s[2:3]
	v_mul_f64 v[36:37], v[2:3], s[14:15]
	v_add_f64 v[12:13], v[18:19], v[12:13]
	v_fma_f64 v[18:19], v[207:208], s[2:3], v[24:25]
	v_mul_f64 v[24:25], v[215:216], s[18:19]
	v_add_f64 v[16:17], v[18:19], v[16:17]
	v_fma_f64 v[18:19], v[221:222], s[22:23], -v[26:27]
	v_mul_f64 v[26:27], v[233:234], s[38:39]
	v_add_f64 v[12:13], v[18:19], v[12:13]
	v_fma_f64 v[18:19], v[223:224], s[40:41], v[28:29]
	v_mul_f64 v[28:29], v[235:236], s[16:17]
	v_add_f64 v[16:17], v[18:19], v[16:17]
	v_fma_f64 v[18:19], v[241:242], s[12:13], -v[30:31]
	;; [unrolled: 6-line block ×3, first 2 shown]
	v_mul_f64 v[34:35], v[0:1], s[20:21]
	v_add_f64 v[62:63], v[14:15], v[16:17]
	v_add_f64 v[60:61], v[18:19], v[12:13]
	v_fma_f64 v[12:13], v[84:85], s[18:19], v[22:23]
	v_fma_f64 v[14:15], v[86:87], s[36:37], v[24:25]
	;; [unrolled: 1-line block ×3, first 2 shown]
	v_fma_f64 v[22:23], v[84:85], s[18:19], -v[22:23]
	v_fma_f64 v[24:25], v[86:87], s[2:3], v[24:25]
	v_fma_f64 v[26:27], v[205:206], s[16:17], -v[26:27]
	v_add_f64 v[12:13], v[12:13], v[239:240]
	v_add_f64 v[14:15], v[14:15], v[237:238]
	;; [unrolled: 1-line block ×3, first 2 shown]
	v_fma_f64 v[16:17], v[207:208], s[6:7], v[28:29]
	v_fma_f64 v[28:29], v[207:208], s[38:39], v[28:29]
	v_add_f64 v[14:15], v[16:17], v[14:15]
	v_fma_f64 v[16:17], v[221:222], s[28:29], v[30:31]
	v_fma_f64 v[30:31], v[221:222], s[28:29], -v[30:31]
	v_add_f64 v[12:13], v[16:17], v[12:13]
	v_fma_f64 v[16:17], v[223:224], s[42:43], v[32:33]
	v_fma_f64 v[32:33], v[223:224], s[34:35], v[32:33]
	v_add_f64 v[14:15], v[16:17], v[14:15]
	v_fma_f64 v[16:17], v[241:242], s[14:15], v[34:35]
	v_fma_f64 v[34:35], v[241:242], s[14:15], -v[34:35]
	v_add_f64 v[12:13], v[16:17], v[12:13]
	;; [unrolled: 6-line block ×4, first 2 shown]
	v_mul_f64 v[231:232], v[215:216], s[22:23]
	v_fma_f64 v[18:19], v[86:87], s[0:1], v[231:232]
	v_add_f64 v[18:19], v[18:19], v[229:230]
	v_mul_f64 v[229:230], v[233:234], s[34:35]
	v_fma_f64 v[237:238], v[205:206], s[28:29], v[229:230]
	v_add_f64 v[16:17], v[237:238], v[16:17]
	;; [unrolled: 3-line block ×4, first 2 shown]
	v_mul_f64 v[56:57], v[251:252], s[12:13]
	v_fma_f64 v[58:59], v[223:224], s[26:27], v[56:57]
	v_fma_f64 v[56:57], v[223:224], s[30:31], v[56:57]
	v_add_f64 v[18:19], v[58:59], v[18:19]
	v_mul_f64 v[58:59], v[0:1], s[36:37]
	v_fma_f64 v[68:69], v[241:242], s[18:19], v[58:59]
	v_add_f64 v[16:17], v[68:69], v[16:17]
	v_mul_f64 v[68:69], v[2:3], s[18:19]
	v_fma_f64 v[70:71], v[243:244], s[2:3], v[68:69]
	v_fma_f64 v[68:69], v[243:244], s[36:37], v[68:69]
	v_add_f64 v[18:19], v[70:71], v[18:19]
	v_mul_f64 v[70:71], v[4:5], s[24:25]
	v_mul_f64 v[4:5], v[4:5], s[26:27]
	v_fma_f64 v[72:73], v[253:254], s[14:15], v[70:71]
	v_add_f64 v[16:17], v[72:73], v[16:17]
	v_mul_f64 v[72:73], v[20:21], s[14:15]
	v_fma_f64 v[74:75], v[6:7], s[20:21], v[72:73]
	v_add_f64 v[18:19], v[74:75], v[18:19]
	v_mul_f64 v[74:75], v[213:214], s[26:27]
	v_fma_f64 v[76:77], v[84:85], s[12:13], v[74:75]
	v_fma_f64 v[74:75], v[84:85], s[12:13], -v[74:75]
	v_add_f64 v[76:77], v[76:77], v[219:220]
	v_add_f64 v[50:51], v[50:51], v[76:77]
	v_mul_f64 v[76:77], v[235:236], s[14:15]
	v_add_f64 v[50:51], v[150:151], v[50:51]
	v_fma_f64 v[217:218], v[207:208], s[24:25], v[76:77]
	v_mul_f64 v[150:151], v[251:252], s[18:19]
	v_fma_f64 v[76:77], v[207:208], s[20:21], v[76:77]
	v_add_f64 v[50:51], v[110:111], v[50:51]
	v_add_f64 v[46:47], v[217:218], v[46:47]
	v_fma_f64 v[217:218], v[223:224], s[2:3], v[150:151]
	v_mul_f64 v[110:111], v[2:3], s[28:29]
	v_add_f64 v[44:45], v[76:77], v[44:45]
	v_add_f64 v[46:47], v[217:218], v[46:47]
	v_fma_f64 v[217:218], v[243:244], s[42:43], v[110:111]
	v_add_f64 v[46:47], v[217:218], v[46:47]
	v_add_f64 v[217:218], v[130:131], v[50:51]
	v_mul_f64 v[50:51], v[20:21], s[16:17]
	v_mul_f64 v[20:21], v[20:21], s[12:13]
	v_fma_f64 v[130:131], v[6:7], s[38:39], v[50:51]
	v_fma_f64 v[50:51], v[6:7], s[6:7], v[50:51]
	v_add_f64 v[219:220], v[130:131], v[46:47]
	v_add_f64 v[46:47], v[201:202], v[160:161]
	;; [unrolled: 1-line block ×3, first 2 shown]
	v_mul_f64 v[160:161], v[233:234], s[0:1]
	v_add_f64 v[46:47], v[46:47], v[164:165]
	v_add_f64 v[130:131], v[130:131], v[166:167]
	v_fma_f64 v[162:163], v[205:206], s[22:23], v[160:161]
	v_add_f64 v[46:47], v[46:47], v[168:169]
	v_add_f64 v[130:131], v[130:131], v[170:171]
	;; [unrolled: 1-line block ×18, first 2 shown]
	v_mul_f64 v[46:47], v[213:214], s[34:35]
	v_mul_f64 v[98:99], v[215:216], s[28:29]
	v_fma_f64 v[96:97], v[84:85], s[28:29], v[46:47]
	v_fma_f64 v[130:131], v[86:87], s[42:43], v[98:99]
	v_fma_f64 v[46:47], v[84:85], s[28:29], -v[46:47]
	v_fma_f64 v[84:85], v[84:85], s[14:15], -v[88:89]
	v_fma_f64 v[88:89], v[86:87], s[40:41], v[231:232]
	v_fma_f64 v[98:99], v[86:87], s[34:35], v[98:99]
	;; [unrolled: 1-line block ×3, first 2 shown]
	s_clause 0x1
	buffer_load_dword v90, off, s[48:51], 0 offset:252
	buffer_load_dword v91, off, s[48:51], 0 offset:256
	v_add_f64 v[96:97], v[96:97], v[199:200]
	v_add_f64 v[130:131], v[130:131], v[197:198]
	;; [unrolled: 1-line block ×4, first 2 shown]
	v_fma_f64 v[98:99], v[207:208], s[34:35], v[237:238]
	v_add_f64 v[96:97], v[162:163], v[96:97]
	v_mul_f64 v[162:163], v[235:236], s[22:23]
	v_fma_f64 v[164:165], v[207:208], s[40:41], v[162:163]
	v_add_f64 v[130:131], v[164:165], v[130:131]
	v_mul_f64 v[164:165], v[249:250], s[24:25]
	;; [unrolled: 3-line block ×5, first 2 shown]
	v_fma_f64 v[2:3], v[243:244], s[38:39], v[96:97]
	v_add_f64 v[2:3], v[2:3], v[130:131]
	v_fma_f64 v[130:131], v[253:254], s[12:13], v[4:5]
	v_add_f64 v[0:1], v[130:131], v[0:1]
	v_fma_f64 v[130:131], v[6:7], s[30:31], v[20:21]
	v_fma_f64 v[20:21], v[6:7], s[26:27], v[20:21]
	v_add_f64 v[2:3], v[130:131], v[2:3]
	v_fma_f64 v[130:131], v[207:208], s[0:1], v[162:163]
	s_waitcnt vmcnt(0)
	v_add_f64 v[22:23], v[22:23], v[90:91]
	s_clause 0x1
	buffer_load_dword v90, off, s[48:51], 0 offset:260
	buffer_load_dword v91, off, s[48:51], 0 offset:264
	v_add_f64 v[22:23], v[26:27], v[22:23]
	v_add_f64 v[22:23], v[30:31], v[22:23]
	;; [unrolled: 1-line block ×3, first 2 shown]
	s_waitcnt vmcnt(0)
	v_add_f64 v[24:25], v[24:25], v[90:91]
	s_clause 0x1
	buffer_load_dword v90, off, s[48:51], 0 offset:268
	buffer_load_dword v91, off, s[48:51], 0 offset:272
	v_add_f64 v[24:25], v[28:29], v[24:25]
	v_add_f64 v[24:25], v[32:33], v[24:25]
	;; [unrolled: 1-line block ×3, first 2 shown]
	s_waitcnt vmcnt(0)
	v_add_f64 v[42:43], v[42:43], v[90:91]
	s_clause 0x1
	buffer_load_dword v90, off, s[48:51], 0 offset:276
	buffer_load_dword v91, off, s[48:51], 0 offset:280
	s_waitcnt vmcnt(0)
	v_add_f64 v[88:89], v[88:89], v[90:91]
	s_clause 0x5
	buffer_load_dword v90, off, s[48:51], 0 offset:284
	buffer_load_dword v91, off, s[48:51], 0 offset:288
	;; [unrolled: 1-line block ×6, first 2 shown]
	s_waitcnt vmcnt(0)
	s_waitcnt_vscnt null, 0x0
	s_barrier
	buffer_gl0_inv
	v_add_f64 v[28:29], v[98:99], v[88:89]
	v_fma_f64 v[88:89], v[223:224], s[24:25], v[166:167]
	v_add_f64 v[28:29], v[56:57], v[28:29]
	v_fma_f64 v[56:57], v[241:242], s[18:19], -v[58:59]
	v_fma_f64 v[58:59], v[241:242], s[28:29], -v[108:109]
	v_add_f64 v[28:29], v[68:69], v[28:29]
	v_add_f64 v[74:75], v[74:75], v[90:91]
	;; [unrolled: 1-line block ×4, first 2 shown]
	v_fma_f64 v[84:85], v[205:206], s[28:29], -v[229:230]
	v_fma_f64 v[86:87], v[205:206], s[22:23], -v[160:161]
	;; [unrolled: 1-line block ×3, first 2 shown]
	v_fma_f64 v[160:161], v[207:208], s[30:31], v[211:212]
	v_add_f64 v[26:27], v[84:85], v[42:43]
	v_add_f64 v[42:43], v[48:49], v[74:75]
	;; [unrolled: 1-line block ×6, first 2 shown]
	v_fma_f64 v[78:79], v[221:222], s[12:13], -v[239:240]
	v_fma_f64 v[80:81], v[221:222], s[18:19], -v[148:149]
	;; [unrolled: 1-line block ×4, first 2 shown]
	v_fma_f64 v[86:87], v[223:224], s[36:37], v[150:151]
	v_fma_f64 v[90:91], v[223:224], s[6:7], v[227:228]
	v_add_f64 v[26:27], v[78:79], v[26:27]
	v_add_f64 v[30:31], v[80:81], v[42:43]
	v_add_f64 v[42:43], v[82:83], v[46:47]
	v_add_f64 v[46:47], v[84:85], v[74:75]
	v_add_f64 v[32:33], v[86:87], v[44:45]
	v_add_f64 v[44:45], v[88:89], v[48:49]
	v_fma_f64 v[74:75], v[241:242], s[16:17], -v[168:169]
	v_fma_f64 v[80:81], v[243:244], s[6:7], v[96:97]
	v_add_f64 v[48:49], v[90:91], v[76:77]
	v_fma_f64 v[78:79], v[243:244], s[34:35], v[110:111]
	v_fma_f64 v[82:83], v[243:244], s[0:1], v[247:248]
	v_fma_f64 v[76:77], v[241:242], s[22:23], -v[245:246]
	v_add_f64 v[26:27], v[56:57], v[26:27]
	v_fma_f64 v[56:57], v[253:254], s[12:13], -v[4:5]
	v_add_f64 v[30:31], v[58:59], v[30:31]
	;; [unrolled: 2-line block ×3, first 2 shown]
	v_add_f64 v[34:35], v[74:75], v[42:43]
	v_add_f64 v[36:37], v[80:81], v[44:45]
	v_add_f64 v[32:33], v[78:79], v[32:33]
	v_add_f64 v[44:45], v[82:83], v[48:49]
	v_fma_f64 v[48:49], v[253:254], s[16:17], -v[128:129]
	v_add_f64 v[42:43], v[76:77], v[46:47]
	v_fma_f64 v[46:47], v[253:254], s[14:15], -v[70:71]
	v_fma_f64 v[76:77], v[6:7], s[24:25], v[72:73]
	v_fma_f64 v[78:79], v[6:7], s[2:3], v[10:11]
	v_add_f64 v[6:7], v[40:41], v[24:25]
	v_add_f64 v[72:73], v[56:57], v[34:35]
	;; [unrolled: 1-line block ×9, first 2 shown]
	ds_write_b128 v192, v[92:95]
	ds_write_b128 v192, v[52:55] offset:208
	ds_write_b128 v192, v[64:67] offset:416
	;; [unrolled: 1-line block ×12, first 2 shown]
	s_waitcnt lgkmcnt(0)
	s_barrier
	buffer_gl0_inv
	ds_read_b128 v[52:55], v255
	ds_read_b128 v[60:63], v255 offset:832
	ds_read_b128 v[72:75], v255 offset:5408
	;; [unrolled: 1-line block ×11, first 2 shown]
	s_and_saveexec_b32 s0, vcc_lo
	s_cbranch_execz .LBB0_7
; %bb.6:
	ds_read_b128 v[56:59], v255 offset:2496
	ds_read_b128 v[0:3], v255 offset:5200
	s_waitcnt lgkmcnt(0)
	buffer_store_dword v0, off, s[48:51], 0 ; 4-byte Folded Spill
	buffer_store_dword v1, off, s[48:51], 0 offset:4 ; 4-byte Folded Spill
	buffer_store_dword v2, off, s[48:51], 0 offset:8 ; 4-byte Folded Spill
	;; [unrolled: 1-line block ×3, first 2 shown]
	ds_read_b128 v[152:155], v255 offset:7904
	ds_read_b128 v[156:159], v255 offset:10608
.LBB0_7:
	s_or_b32 exec_lo, exec_lo, s0
	s_waitcnt lgkmcnt(7)
	v_mul_f64 v[0:1], v[102:103], v[94:95]
	v_mul_f64 v[2:3], v[102:103], v[92:93]
	v_mul_f64 v[4:5], v[118:119], v[74:75]
	v_mul_f64 v[6:7], v[118:119], v[72:73]
	s_waitcnt lgkmcnt(3)
	v_mul_f64 v[8:9], v[114:115], v[162:163]
	v_mul_f64 v[10:11], v[114:115], v[160:161]
	v_mul_f64 v[12:13], v[122:123], v[90:91]
	v_mul_f64 v[14:15], v[122:123], v[88:89]
	v_mul_f64 v[16:17], v[106:107], v[70:71]
	v_mul_f64 v[18:19], v[106:107], v[68:69]
	s_waitcnt lgkmcnt(1)
	v_mul_f64 v[20:21], v[126:127], v[98:99]
	v_mul_f64 v[22:23], v[126:127], v[96:97]
	;; [unrolled: 7-line block ×3, first 2 shown]
	v_fma_f64 v[0:1], v[100:101], v[92:93], v[0:1]
	v_fma_f64 v[2:3], v[100:101], v[94:95], -v[2:3]
	v_fma_f64 v[4:5], v[116:117], v[72:73], v[4:5]
	v_fma_f64 v[6:7], v[116:117], v[74:75], -v[6:7]
	;; [unrolled: 2-line block ×9, first 2 shown]
	v_add_f64 v[36:37], v[52:53], -v[4:5]
	v_add_f64 v[38:39], v[54:55], -v[6:7]
	v_add_f64 v[4:5], v[0:1], -v[8:9]
	v_add_f64 v[6:7], v[2:3], -v[10:11]
	v_add_f64 v[40:41], v[60:61], -v[16:17]
	v_add_f64 v[42:43], v[62:63], -v[18:19]
	v_add_f64 v[8:9], v[12:13], -v[20:21]
	v_add_f64 v[10:11], v[14:15], -v[22:23]
	v_add_f64 v[20:21], v[64:65], -v[28:29]
	v_add_f64 v[22:23], v[66:67], -v[30:31]
	v_add_f64 v[16:17], v[24:25], -v[32:33]
	v_add_f64 v[18:19], v[26:27], -v[34:35]
	v_fma_f64 v[28:29], v[52:53], 2.0, -v[36:37]
	v_fma_f64 v[30:31], v[54:55], 2.0, -v[38:39]
	v_fma_f64 v[32:33], v[0:1], 2.0, -v[4:5]
	v_fma_f64 v[34:35], v[2:3], 2.0, -v[6:7]
	v_add_f64 v[0:1], v[36:37], v[6:7]
	v_add_f64 v[2:3], v[38:39], -v[4:5]
	v_fma_f64 v[44:45], v[60:61], 2.0, -v[40:41]
	v_fma_f64 v[46:47], v[62:63], 2.0, -v[42:43]
	v_fma_f64 v[48:49], v[12:13], 2.0, -v[8:9]
	v_fma_f64 v[50:51], v[14:15], 2.0, -v[10:11]
	v_add_f64 v[4:5], v[40:41], v[10:11]
	v_add_f64 v[6:7], v[42:43], -v[8:9]
	v_fma_f64 v[80:81], v[64:65], 2.0, -v[20:21]
	v_fma_f64 v[82:83], v[66:67], 2.0, -v[22:23]
	v_fma_f64 v[24:25], v[24:25], 2.0, -v[16:17]
	v_fma_f64 v[26:27], v[26:27], 2.0, -v[18:19]
	v_add_f64 v[8:9], v[20:21], v[18:19]
	v_add_f64 v[10:11], v[22:23], -v[16:17]
	v_add_f64 v[12:13], v[28:29], -v[32:33]
	v_add_f64 v[14:15], v[30:31], -v[34:35]
	v_fma_f64 v[60:61], v[36:37], 2.0, -v[0:1]
	v_fma_f64 v[62:63], v[38:39], 2.0, -v[2:3]
	v_add_f64 v[16:17], v[44:45], -v[48:49]
	v_add_f64 v[18:19], v[46:47], -v[50:51]
	v_fma_f64 v[64:65], v[40:41], 2.0, -v[4:5]
	v_fma_f64 v[66:67], v[42:43], 2.0, -v[6:7]
	;; [unrolled: 4-line block ×3, first 2 shown]
	v_fma_f64 v[72:73], v[28:29], 2.0, -v[12:13]
	v_fma_f64 v[74:75], v[30:31], 2.0, -v[14:15]
	;; [unrolled: 1-line block ×6, first 2 shown]
	ds_write_b128 v255, v[0:3] offset:8112
	ds_write_b128 v255, v[4:7] offset:8944
	;; [unrolled: 1-line block ×8, first 2 shown]
	ds_write_b128 v255, v[72:75]
	ds_write_b128 v255, v[76:79] offset:832
	ds_write_b128 v255, v[80:83] offset:1664
	;; [unrolled: 1-line block ×3, first 2 shown]
	s_and_saveexec_b32 s0, vcc_lo
	s_cbranch_execz .LBB0_9
; %bb.8:
	s_clause 0xb
	buffer_load_dword v12, off, s[48:51], 0 offset:292
	buffer_load_dword v13, off, s[48:51], 0 offset:296
	;; [unrolled: 1-line block ×8, first 2 shown]
	buffer_load_dword v20, off, s[48:51], 0
	buffer_load_dword v21, off, s[48:51], 0 offset:4
	buffer_load_dword v22, off, s[48:51], 0 offset:8
	;; [unrolled: 1-line block ×3, first 2 shown]
	v_mul_f64 v[6:7], v[134:135], v[156:157]
	v_mul_f64 v[10:11], v[134:135], v[158:159]
	v_fma_f64 v[6:7], v[132:133], v[158:159], -v[6:7]
	v_fma_f64 v[10:11], v[132:133], v[156:157], v[10:11]
	s_waitcnt vmcnt(8)
	v_mul_f64 v[0:1], v[14:15], v[152:153]
	s_waitcnt vmcnt(0)
	v_mul_f64 v[2:3], v[18:19], v[22:23]
	v_mul_f64 v[4:5], v[18:19], v[20:21]
	;; [unrolled: 1-line block ×3, first 2 shown]
	v_fma_f64 v[0:1], v[12:13], v[154:155], -v[0:1]
	v_fma_f64 v[2:3], v[16:17], v[20:21], v[2:3]
	v_fma_f64 v[4:5], v[16:17], v[22:23], -v[4:5]
	v_fma_f64 v[8:9], v[12:13], v[152:153], v[8:9]
	v_add_f64 v[12:13], v[58:59], -v[0:1]
	v_add_f64 v[0:1], v[4:5], -v[6:7]
	;; [unrolled: 1-line block ×4, first 2 shown]
	v_fma_f64 v[14:15], v[58:59], 2.0, -v[12:13]
	v_fma_f64 v[4:5], v[4:5], 2.0, -v[0:1]
	;; [unrolled: 1-line block ×4, first 2 shown]
	v_add_f64 v[2:3], v[12:13], -v[6:7]
	v_add_f64 v[0:1], v[8:9], v[0:1]
	v_add_f64 v[6:7], v[14:15], -v[4:5]
	v_add_f64 v[4:5], v[16:17], -v[10:11]
	v_fma_f64 v[10:11], v[12:13], 2.0, -v[2:3]
	v_fma_f64 v[8:9], v[8:9], 2.0, -v[0:1]
	;; [unrolled: 1-line block ×4, first 2 shown]
	ds_write_b128 v255, v[8:11] offset:5200
	ds_write_b128 v255, v[4:7] offset:7904
	;; [unrolled: 1-line block ×4, first 2 shown]
.LBB0_9:
	s_or_b32 exec_lo, exec_lo, s0
	s_waitcnt lgkmcnt(0)
	s_waitcnt_vscnt null, 0x0
	s_barrier
	buffer_gl0_inv
	ds_read_b128 v[0:3], v255
	ds_read_b128 v[4:7], v255 offset:832
	ds_read_b128 v[8:11], v255 offset:1664
	s_clause 0x1
	buffer_load_dword v12, off, s[48:51], 0 offset:16
	buffer_load_dword v13, off, s[48:51], 0 offset:20
	s_mov_b32 s0, 0x7ab2bedd
	s_mov_b32 s1, 0x3f583c97
	s_mul_i32 s3, s9, 0x340
	s_mul_hi_u32 s6, s8, 0x340
	s_mul_i32 s2, s8, 0x340
	s_add_i32 s6, s6, s3
	s_waitcnt vmcnt(1)
	v_mov_b32_e32 v36, v12
	s_waitcnt vmcnt(0)
	ds_read_b128 v[12:15], v255 offset:2496
	s_clause 0x3
	buffer_load_dword v42, off, s[48:51], 0 offset:28
	buffer_load_dword v43, off, s[48:51], 0 offset:32
	;; [unrolled: 1-line block ×4, first 2 shown]
	v_mad_u64_u32 v[20:21], null, s10, v36, 0
	s_waitcnt vmcnt(0) lgkmcnt(3)
	v_mul_f64 v[22:23], v[44:45], v[2:3]
	v_mul_f64 v[24:25], v[44:45], v[0:1]
	s_clause 0x3
	buffer_load_dword v44, off, s[48:51], 0 offset:44
	buffer_load_dword v45, off, s[48:51], 0 offset:48
	;; [unrolled: 1-line block ×4, first 2 shown]
	v_mad_u64_u32 v[36:37], null, s11, v36, v[21:22]
	v_fma_f64 v[22:23], v[42:43], v[0:1], v[22:23]
	v_fma_f64 v[24:25], v[42:43], v[2:3], -v[24:25]
	v_mov_b32_e32 v21, v36
	v_lshlrev_b64 v[20:21], 4, v[20:21]
	s_waitcnt vmcnt(0) lgkmcnt(2)
	v_mul_f64 v[26:27], v[46:47], v[6:7]
	v_mul_f64 v[28:29], v[46:47], v[4:5]
	s_clause 0x4
	buffer_load_dword v46, off, s[48:51], 0 offset:76
	buffer_load_dword v47, off, s[48:51], 0 offset:80
	;; [unrolled: 1-line block ×5, first 2 shown]
	ds_read_b128 v[16:19], v255 offset:3328
	ds_read_b128 v[52:55], v255 offset:4160
	;; [unrolled: 1-line block ×4, first 2 shown]
	s_clause 0x3
	buffer_load_dword v64, off, s[48:51], 0 offset:60
	buffer_load_dword v65, off, s[48:51], 0 offset:64
	;; [unrolled: 1-line block ×4, first 2 shown]
	v_fma_f64 v[26:27], v[44:45], v[4:5], v[26:27]
	v_fma_f64 v[28:29], v[44:45], v[6:7], -v[28:29]
	s_waitcnt vmcnt(5) lgkmcnt(5)
	v_mul_f64 v[30:31], v[48:49], v[10:11]
	v_mul_f64 v[32:33], v[48:49], v[8:9]
	s_waitcnt vmcnt(4)
	v_mad_u64_u32 v[34:35], null, s8, v41, 0
	s_waitcnt vmcnt(0) lgkmcnt(4)
	v_mul_f64 v[37:38], v[66:67], v[14:15]
	v_mul_f64 v[39:40], v[66:67], v[12:13]
	;; [unrolled: 1-line block ×3, first 2 shown]
	v_mad_u64_u32 v[41:42], null, s9, v41, v[35:36]
	v_mov_b32_e32 v35, v41
	v_fma_f64 v[30:31], v[46:47], v[8:9], v[30:31]
	v_fma_f64 v[32:33], v[46:47], v[10:11], -v[32:33]
	ds_read_b128 v[0:3], v255 offset:6656
	ds_read_b128 v[4:7], v255 offset:7488
	ds_read_b128 v[8:11], v255 offset:8320
	s_clause 0x3
	buffer_load_dword v72, off, s[48:51], 0 offset:92
	buffer_load_dword v73, off, s[48:51], 0 offset:96
	;; [unrolled: 1-line block ×4, first 2 shown]
	v_fma_f64 v[36:37], v[64:65], v[12:13], v[37:38]
	v_mul_f64 v[12:13], v[22:23], s[0:1]
	v_add_co_u32 v22, vcc_lo, s4, v20
	v_fma_f64 v[38:39], v[64:65], v[14:15], -v[39:40]
	v_mul_f64 v[14:15], v[24:25], s[0:1]
	v_lshlrev_b64 v[34:35], 4, v[34:35]
	v_mul_f64 v[64:65], v[26:27], s[0:1]
	v_add_co_ci_u32_e32 v23, vcc_lo, s5, v21, vcc_lo
	v_add_co_u32 v22, vcc_lo, v22, v34
	v_add_co_ci_u32_e32 v23, vcc_lo, v23, v35, vcc_lo
	v_add_co_u32 v26, vcc_lo, v22, s2
	v_mul_f64 v[68:69], v[30:31], s[0:1]
	v_mul_f64 v[70:71], v[32:33], s[0:1]
	v_add_co_ci_u32_e32 v27, vcc_lo, s6, v23, vcc_lo
	v_add_co_u32 v30, vcc_lo, v26, s2
	v_add_co_ci_u32_e32 v31, vcc_lo, s6, v27, vcc_lo
	s_waitcnt vmcnt(0) lgkmcnt(6)
	v_mul_f64 v[42:43], v[74:75], v[18:19]
	v_mul_f64 v[44:45], v[74:75], v[16:17]
	s_clause 0x3
	buffer_load_dword v74, off, s[48:51], 0 offset:108
	buffer_load_dword v75, off, s[48:51], 0 offset:112
	;; [unrolled: 1-line block ×4, first 2 shown]
	v_fma_f64 v[20:21], v[72:73], v[16:17], v[42:43]
	v_fma_f64 v[24:25], v[72:73], v[18:19], -v[44:45]
	v_mul_f64 v[16:17], v[36:37], s[0:1]
	v_mul_f64 v[18:19], v[38:39], s[0:1]
	s_waitcnt vmcnt(0) lgkmcnt(5)
	v_mul_f64 v[46:47], v[76:77], v[54:55]
	v_mul_f64 v[48:49], v[76:77], v[52:53]
	s_clause 0x3
	buffer_load_dword v76, off, s[48:51], 0 offset:124
	buffer_load_dword v77, off, s[48:51], 0 offset:128
	;; [unrolled: 1-line block ×4, first 2 shown]
	global_store_dwordx4 v[22:23], v[12:15], off
	global_store_dwordx4 v[26:27], v[64:67], off
	;; [unrolled: 1-line block ×3, first 2 shown]
	ds_read_b128 v[12:15], v255 offset:9152
	ds_read_b128 v[68:71], v255 offset:9984
	v_mul_f64 v[64:65], v[20:21], s[0:1]
	v_mul_f64 v[66:67], v[24:25], s[0:1]
	v_add_co_u32 v22, vcc_lo, v30, s2
	v_add_co_ci_u32_e32 v23, vcc_lo, s6, v31, vcc_lo
	v_add_co_u32 v32, vcc_lo, v22, s2
	v_add_co_ci_u32_e32 v33, vcc_lo, s6, v23, vcc_lo
	v_fma_f64 v[20:21], v[74:75], v[52:53], v[46:47]
	v_fma_f64 v[24:25], v[74:75], v[54:55], -v[48:49]
	s_clause 0x3
	buffer_load_dword v72, off, s[48:51], 0 offset:140
	buffer_load_dword v73, off, s[48:51], 0 offset:144
	;; [unrolled: 1-line block ×4, first 2 shown]
	s_waitcnt vmcnt(4) lgkmcnt(6)
	v_mul_f64 v[50:51], v[78:79], v[58:59]
	v_mul_f64 v[28:29], v[78:79], v[56:57]
	s_clause 0x3
	buffer_load_dword v78, off, s[48:51], 0 offset:156
	buffer_load_dword v79, off, s[48:51], 0 offset:160
	;; [unrolled: 1-line block ×4, first 2 shown]
	s_waitcnt vmcnt(4) lgkmcnt(5)
	v_mul_f64 v[26:27], v[74:75], v[62:63]
	v_mul_f64 v[30:31], v[74:75], v[60:61]
	v_fma_f64 v[38:39], v[76:77], v[56:57], v[50:51]
	v_fma_f64 v[28:29], v[76:77], v[58:59], -v[28:29]
	s_clause 0x7
	buffer_load_dword v56, off, s[48:51], 0 offset:172
	buffer_load_dword v57, off, s[48:51], 0 offset:176
	;; [unrolled: 1-line block ×8, first 2 shown]
	s_waitcnt vmcnt(8) lgkmcnt(4)
	v_mul_f64 v[34:35], v[80:81], v[2:3]
	v_mul_f64 v[36:37], v[80:81], v[0:1]
	s_clause 0x3
	buffer_load_dword v80, off, s[48:51], 0 offset:204
	buffer_load_dword v81, off, s[48:51], 0 offset:208
	;; [unrolled: 1-line block ×4, first 2 shown]
	s_waitcnt vmcnt(8) lgkmcnt(3)
	v_mul_f64 v[40:41], v[58:59], v[6:7]
	v_mul_f64 v[42:43], v[58:59], v[4:5]
	s_waitcnt vmcnt(4) lgkmcnt(2)
	v_mul_f64 v[44:45], v[76:77], v[10:11]
	v_mul_f64 v[46:47], v[76:77], v[8:9]
	;; [unrolled: 3-line block ×3, first 2 shown]
	s_clause 0x3
	buffer_load_dword v82, off, s[48:51], 0 offset:220
	buffer_load_dword v83, off, s[48:51], 0 offset:224
	;; [unrolled: 1-line block ×4, first 2 shown]
	global_store_dwordx4 v[22:23], v[16:19], off
	global_store_dwordx4 v[32:33], v[64:67], off
	v_mul_f64 v[16:17], v[20:21], s[0:1]
	v_mul_f64 v[18:19], v[24:25], s[0:1]
	v_fma_f64 v[20:21], v[72:73], v[60:61], v[26:27]
	v_fma_f64 v[22:23], v[72:73], v[62:63], -v[30:31]
	v_fma_f64 v[24:25], v[78:79], v[0:1], v[34:35]
	v_fma_f64 v[26:27], v[78:79], v[2:3], -v[36:37]
	v_mul_f64 v[2:3], v[28:29], s[0:1]
	v_fma_f64 v[28:29], v[56:57], v[4:5], v[40:41]
	v_fma_f64 v[30:31], v[56:57], v[6:7], -v[42:43]
	v_fma_f64 v[34:35], v[74:75], v[8:9], v[44:45]
	v_fma_f64 v[36:37], v[74:75], v[10:11], -v[46:47]
	v_mul_f64 v[0:1], v[38:39], s[0:1]
	v_add_co_u32 v32, vcc_lo, v32, s2
	v_add_co_ci_u32_e32 v33, vcc_lo, s6, v33, vcc_lo
	v_add_co_u32 v46, vcc_lo, v32, s2
	v_fma_f64 v[38:39], v[80:81], v[12:13], v[48:49]
	v_fma_f64 v[40:41], v[80:81], v[14:15], -v[50:51]
	v_add_co_ci_u32_e32 v47, vcc_lo, s6, v33, vcc_lo
	v_add_co_u32 v48, vcc_lo, v46, s2
	v_mul_f64 v[4:5], v[20:21], s[0:1]
	v_add_co_ci_u32_e32 v49, vcc_lo, s6, v47, vcc_lo
	v_add_co_u32 v50, vcc_lo, v48, s2
	v_mul_f64 v[6:7], v[22:23], s[0:1]
	v_mul_f64 v[8:9], v[24:25], s[0:1]
	;; [unrolled: 1-line block ×3, first 2 shown]
	v_add_co_ci_u32_e32 v51, vcc_lo, s6, v49, vcc_lo
	v_mul_f64 v[12:13], v[28:29], s[0:1]
	v_mul_f64 v[14:15], v[30:31], s[0:1]
	;; [unrolled: 1-line block ×4, first 2 shown]
	v_add_co_u32 v34, vcc_lo, v50, s2
	v_mul_f64 v[24:25], v[38:39], s[0:1]
	v_mul_f64 v[26:27], v[40:41], s[0:1]
	v_add_co_ci_u32_e32 v35, vcc_lo, s6, v51, vcc_lo
	global_store_dwordx4 v[32:33], v[16:19], off
	v_add_co_u32 v16, vcc_lo, v34, s2
	v_add_co_ci_u32_e32 v17, vcc_lo, s6, v35, vcc_lo
	global_store_dwordx4 v[46:47], v[0:3], off
	v_add_co_u32 v0, vcc_lo, v16, s2
	;; [unrolled: 3-line block ×3, first 2 shown]
	v_add_co_ci_u32_e32 v3, vcc_lo, s6, v1, vcc_lo
	s_waitcnt vmcnt(0) lgkmcnt(0)
	v_mul_f64 v[52:53], v[84:85], v[70:71]
	v_mul_f64 v[54:55], v[84:85], v[68:69]
	v_fma_f64 v[42:43], v[82:83], v[68:69], v[52:53]
	v_fma_f64 v[44:45], v[82:83], v[70:71], -v[54:55]
	v_mul_f64 v[28:29], v[42:43], s[0:1]
	v_mul_f64 v[30:31], v[44:45], s[0:1]
	global_store_dwordx4 v[50:51], v[8:11], off
	global_store_dwordx4 v[34:35], v[12:15], off
	;; [unrolled: 1-line block ×5, first 2 shown]
.LBB0_10:
	s_endpgm
	.section	.rodata,"a",@progbits
	.p2align	6, 0x0
	.amdhsa_kernel bluestein_single_back_len676_dim1_dp_op_CI_CI
		.amdhsa_group_segment_fixed_size 10816
		.amdhsa_private_segment_fixed_size 328
		.amdhsa_kernarg_size 104
		.amdhsa_user_sgpr_count 6
		.amdhsa_user_sgpr_private_segment_buffer 1
		.amdhsa_user_sgpr_dispatch_ptr 0
		.amdhsa_user_sgpr_queue_ptr 0
		.amdhsa_user_sgpr_kernarg_segment_ptr 1
		.amdhsa_user_sgpr_dispatch_id 0
		.amdhsa_user_sgpr_flat_scratch_init 0
		.amdhsa_user_sgpr_private_segment_size 0
		.amdhsa_wavefront_size32 1
		.amdhsa_uses_dynamic_stack 0
		.amdhsa_system_sgpr_private_segment_wavefront_offset 1
		.amdhsa_system_sgpr_workgroup_id_x 1
		.amdhsa_system_sgpr_workgroup_id_y 0
		.amdhsa_system_sgpr_workgroup_id_z 0
		.amdhsa_system_sgpr_workgroup_info 0
		.amdhsa_system_vgpr_workitem_id 0
		.amdhsa_next_free_vgpr 256
		.amdhsa_next_free_sgpr 52
		.amdhsa_reserve_vcc 1
		.amdhsa_reserve_flat_scratch 0
		.amdhsa_float_round_mode_32 0
		.amdhsa_float_round_mode_16_64 0
		.amdhsa_float_denorm_mode_32 3
		.amdhsa_float_denorm_mode_16_64 3
		.amdhsa_dx10_clamp 1
		.amdhsa_ieee_mode 1
		.amdhsa_fp16_overflow 0
		.amdhsa_workgroup_processor_mode 1
		.amdhsa_memory_ordered 1
		.amdhsa_forward_progress 0
		.amdhsa_shared_vgpr_count 0
		.amdhsa_exception_fp_ieee_invalid_op 0
		.amdhsa_exception_fp_denorm_src 0
		.amdhsa_exception_fp_ieee_div_zero 0
		.amdhsa_exception_fp_ieee_overflow 0
		.amdhsa_exception_fp_ieee_underflow 0
		.amdhsa_exception_fp_ieee_inexact 0
		.amdhsa_exception_int_div_zero 0
	.end_amdhsa_kernel
	.text
.Lfunc_end0:
	.size	bluestein_single_back_len676_dim1_dp_op_CI_CI, .Lfunc_end0-bluestein_single_back_len676_dim1_dp_op_CI_CI
                                        ; -- End function
	.section	.AMDGPU.csdata,"",@progbits
; Kernel info:
; codeLenInByte = 23320
; NumSgprs: 54
; NumVgprs: 256
; ScratchSize: 328
; MemoryBound: 0
; FloatMode: 240
; IeeeMode: 1
; LDSByteSize: 10816 bytes/workgroup (compile time only)
; SGPRBlocks: 6
; VGPRBlocks: 31
; NumSGPRsForWavesPerEU: 54
; NumVGPRsForWavesPerEU: 256
; Occupancy: 4
; WaveLimiterHint : 1
; COMPUTE_PGM_RSRC2:SCRATCH_EN: 1
; COMPUTE_PGM_RSRC2:USER_SGPR: 6
; COMPUTE_PGM_RSRC2:TRAP_HANDLER: 0
; COMPUTE_PGM_RSRC2:TGID_X_EN: 1
; COMPUTE_PGM_RSRC2:TGID_Y_EN: 0
; COMPUTE_PGM_RSRC2:TGID_Z_EN: 0
; COMPUTE_PGM_RSRC2:TIDIG_COMP_CNT: 0
	.text
	.p2alignl 6, 3214868480
	.fill 48, 4, 3214868480
	.type	__hip_cuid_c8479e88ea29a79f,@object ; @__hip_cuid_c8479e88ea29a79f
	.section	.bss,"aw",@nobits
	.globl	__hip_cuid_c8479e88ea29a79f
__hip_cuid_c8479e88ea29a79f:
	.byte	0                               ; 0x0
	.size	__hip_cuid_c8479e88ea29a79f, 1

	.ident	"AMD clang version 19.0.0git (https://github.com/RadeonOpenCompute/llvm-project roc-6.4.0 25133 c7fe45cf4b819c5991fe208aaa96edf142730f1d)"
	.section	".note.GNU-stack","",@progbits
	.addrsig
	.addrsig_sym __hip_cuid_c8479e88ea29a79f
	.amdgpu_metadata
---
amdhsa.kernels:
  - .args:
      - .actual_access:  read_only
        .address_space:  global
        .offset:         0
        .size:           8
        .value_kind:     global_buffer
      - .actual_access:  read_only
        .address_space:  global
        .offset:         8
        .size:           8
        .value_kind:     global_buffer
      - .actual_access:  read_only
        .address_space:  global
        .offset:         16
        .size:           8
        .value_kind:     global_buffer
      - .actual_access:  read_only
        .address_space:  global
        .offset:         24
        .size:           8
        .value_kind:     global_buffer
      - .actual_access:  read_only
        .address_space:  global
        .offset:         32
        .size:           8
        .value_kind:     global_buffer
      - .offset:         40
        .size:           8
        .value_kind:     by_value
      - .address_space:  global
        .offset:         48
        .size:           8
        .value_kind:     global_buffer
      - .address_space:  global
        .offset:         56
        .size:           8
        .value_kind:     global_buffer
      - .address_space:  global
        .offset:         64
        .size:           8
        .value_kind:     global_buffer
      - .address_space:  global
        .offset:         72
        .size:           8
        .value_kind:     global_buffer
      - .offset:         80
        .size:           4
        .value_kind:     by_value
      - .address_space:  global
        .offset:         88
        .size:           8
        .value_kind:     global_buffer
      - .address_space:  global
        .offset:         96
        .size:           8
        .value_kind:     global_buffer
    .group_segment_fixed_size: 10816
    .kernarg_segment_align: 8
    .kernarg_segment_size: 104
    .language:       OpenCL C
    .language_version:
      - 2
      - 0
    .max_flat_workgroup_size: 52
    .name:           bluestein_single_back_len676_dim1_dp_op_CI_CI
    .private_segment_fixed_size: 328
    .sgpr_count:     54
    .sgpr_spill_count: 0
    .symbol:         bluestein_single_back_len676_dim1_dp_op_CI_CI.kd
    .uniform_work_group_size: 1
    .uses_dynamic_stack: false
    .vgpr_count:     256
    .vgpr_spill_count: 85
    .wavefront_size: 32
    .workgroup_processor_mode: 1
amdhsa.target:   amdgcn-amd-amdhsa--gfx1030
amdhsa.version:
  - 1
  - 2
...

	.end_amdgpu_metadata
